;; amdgpu-corpus repo=ROCm/rocFFT kind=compiled arch=gfx906 opt=O3
	.text
	.amdgcn_target "amdgcn-amd-amdhsa--gfx906"
	.amdhsa_code_object_version 6
	.protected	fft_rtc_back_len1496_factors_17_8_11_wgs_187_tpt_187_halfLds_dp_ip_CI_unitstride_sbrr_C2R_dirReg ; -- Begin function fft_rtc_back_len1496_factors_17_8_11_wgs_187_tpt_187_halfLds_dp_ip_CI_unitstride_sbrr_C2R_dirReg
	.globl	fft_rtc_back_len1496_factors_17_8_11_wgs_187_tpt_187_halfLds_dp_ip_CI_unitstride_sbrr_C2R_dirReg
	.p2align	8
	.type	fft_rtc_back_len1496_factors_17_8_11_wgs_187_tpt_187_halfLds_dp_ip_CI_unitstride_sbrr_C2R_dirReg,@function
fft_rtc_back_len1496_factors_17_8_11_wgs_187_tpt_187_halfLds_dp_ip_CI_unitstride_sbrr_C2R_dirReg: ; @fft_rtc_back_len1496_factors_17_8_11_wgs_187_tpt_187_halfLds_dp_ip_CI_unitstride_sbrr_C2R_dirReg
; %bb.0:
	s_load_dwordx2 s[2:3], s[4:5], 0x50
	s_load_dwordx4 s[8:11], s[4:5], 0x0
	s_load_dwordx2 s[12:13], s[4:5], 0x18
	v_mul_u32_u24_e32 v1, 0x15f, v0
	v_add_u32_sdwa v5, s6, v1 dst_sel:DWORD dst_unused:UNUSED_PAD src0_sel:DWORD src1_sel:WORD_1
	v_mov_b32_e32 v3, 0
	s_waitcnt lgkmcnt(0)
	v_cmp_lt_u64_e64 s[0:1], s[10:11], 2
	v_mov_b32_e32 v1, 0
	v_mov_b32_e32 v6, v3
	s_and_b64 vcc, exec, s[0:1]
	v_mov_b32_e32 v2, 0
	s_cbranch_vccnz .LBB0_8
; %bb.1:
	s_load_dwordx2 s[0:1], s[4:5], 0x10
	s_add_u32 s6, s12, 8
	s_addc_u32 s7, s13, 0
	v_mov_b32_e32 v1, 0
	v_mov_b32_e32 v2, 0
	s_waitcnt lgkmcnt(0)
	s_add_u32 s14, s0, 8
	s_addc_u32 s15, s1, 0
	s_mov_b64 s[16:17], 1
.LBB0_2:                                ; =>This Inner Loop Header: Depth=1
	s_load_dwordx2 s[18:19], s[14:15], 0x0
                                        ; implicit-def: $vgpr7_vgpr8
	s_waitcnt lgkmcnt(0)
	v_or_b32_e32 v4, s19, v6
	v_cmp_ne_u64_e32 vcc, 0, v[3:4]
	s_and_saveexec_b64 s[0:1], vcc
	s_xor_b64 s[20:21], exec, s[0:1]
	s_cbranch_execz .LBB0_4
; %bb.3:                                ;   in Loop: Header=BB0_2 Depth=1
	v_cvt_f32_u32_e32 v4, s18
	v_cvt_f32_u32_e32 v7, s19
	s_sub_u32 s0, 0, s18
	s_subb_u32 s1, 0, s19
	v_mac_f32_e32 v4, 0x4f800000, v7
	v_rcp_f32_e32 v4, v4
	v_mul_f32_e32 v4, 0x5f7ffffc, v4
	v_mul_f32_e32 v7, 0x2f800000, v4
	v_trunc_f32_e32 v7, v7
	v_mac_f32_e32 v4, 0xcf800000, v7
	v_cvt_u32_f32_e32 v7, v7
	v_cvt_u32_f32_e32 v4, v4
	v_mul_lo_u32 v8, s0, v7
	v_mul_hi_u32 v9, s0, v4
	v_mul_lo_u32 v11, s1, v4
	v_mul_lo_u32 v10, s0, v4
	v_add_u32_e32 v8, v9, v8
	v_add_u32_e32 v8, v8, v11
	v_mul_hi_u32 v9, v4, v10
	v_mul_lo_u32 v11, v4, v8
	v_mul_hi_u32 v13, v4, v8
	v_mul_hi_u32 v12, v7, v10
	v_mul_lo_u32 v10, v7, v10
	v_mul_hi_u32 v14, v7, v8
	v_add_co_u32_e32 v9, vcc, v9, v11
	v_addc_co_u32_e32 v11, vcc, 0, v13, vcc
	v_mul_lo_u32 v8, v7, v8
	v_add_co_u32_e32 v9, vcc, v9, v10
	v_addc_co_u32_e32 v9, vcc, v11, v12, vcc
	v_addc_co_u32_e32 v10, vcc, 0, v14, vcc
	v_add_co_u32_e32 v8, vcc, v9, v8
	v_addc_co_u32_e32 v9, vcc, 0, v10, vcc
	v_add_co_u32_e32 v4, vcc, v4, v8
	v_addc_co_u32_e32 v7, vcc, v7, v9, vcc
	v_mul_lo_u32 v8, s0, v7
	v_mul_hi_u32 v9, s0, v4
	v_mul_lo_u32 v10, s1, v4
	v_mul_lo_u32 v11, s0, v4
	v_add_u32_e32 v8, v9, v8
	v_add_u32_e32 v8, v8, v10
	v_mul_lo_u32 v12, v4, v8
	v_mul_hi_u32 v13, v4, v11
	v_mul_hi_u32 v14, v4, v8
	;; [unrolled: 1-line block ×3, first 2 shown]
	v_mul_lo_u32 v11, v7, v11
	v_mul_hi_u32 v9, v7, v8
	v_add_co_u32_e32 v12, vcc, v13, v12
	v_addc_co_u32_e32 v13, vcc, 0, v14, vcc
	v_mul_lo_u32 v8, v7, v8
	v_add_co_u32_e32 v11, vcc, v12, v11
	v_addc_co_u32_e32 v10, vcc, v13, v10, vcc
	v_addc_co_u32_e32 v9, vcc, 0, v9, vcc
	v_add_co_u32_e32 v8, vcc, v10, v8
	v_addc_co_u32_e32 v9, vcc, 0, v9, vcc
	v_add_co_u32_e32 v4, vcc, v4, v8
	v_addc_co_u32_e32 v9, vcc, v7, v9, vcc
	v_mad_u64_u32 v[7:8], s[0:1], v5, v9, 0
	v_mul_hi_u32 v10, v5, v4
	v_add_co_u32_e32 v11, vcc, v10, v7
	v_addc_co_u32_e32 v12, vcc, 0, v8, vcc
	v_mad_u64_u32 v[7:8], s[0:1], v6, v4, 0
	v_mad_u64_u32 v[9:10], s[0:1], v6, v9, 0
	v_add_co_u32_e32 v4, vcc, v11, v7
	v_addc_co_u32_e32 v4, vcc, v12, v8, vcc
	v_addc_co_u32_e32 v7, vcc, 0, v10, vcc
	v_add_co_u32_e32 v4, vcc, v4, v9
	v_addc_co_u32_e32 v9, vcc, 0, v7, vcc
	v_mul_lo_u32 v10, s19, v4
	v_mul_lo_u32 v11, s18, v9
	v_mad_u64_u32 v[7:8], s[0:1], s18, v4, 0
	v_add3_u32 v8, v8, v11, v10
	v_sub_u32_e32 v10, v6, v8
	v_mov_b32_e32 v11, s19
	v_sub_co_u32_e32 v7, vcc, v5, v7
	v_subb_co_u32_e64 v10, s[0:1], v10, v11, vcc
	v_subrev_co_u32_e64 v11, s[0:1], s18, v7
	v_subbrev_co_u32_e64 v10, s[0:1], 0, v10, s[0:1]
	v_cmp_le_u32_e64 s[0:1], s19, v10
	v_cndmask_b32_e64 v12, 0, -1, s[0:1]
	v_cmp_le_u32_e64 s[0:1], s18, v11
	v_cndmask_b32_e64 v11, 0, -1, s[0:1]
	v_cmp_eq_u32_e64 s[0:1], s19, v10
	v_cndmask_b32_e64 v10, v12, v11, s[0:1]
	v_add_co_u32_e64 v11, s[0:1], 2, v4
	v_addc_co_u32_e64 v12, s[0:1], 0, v9, s[0:1]
	v_add_co_u32_e64 v13, s[0:1], 1, v4
	v_addc_co_u32_e64 v14, s[0:1], 0, v9, s[0:1]
	v_subb_co_u32_e32 v8, vcc, v6, v8, vcc
	v_cmp_ne_u32_e64 s[0:1], 0, v10
	v_cmp_le_u32_e32 vcc, s19, v8
	v_cndmask_b32_e64 v10, v14, v12, s[0:1]
	v_cndmask_b32_e64 v12, 0, -1, vcc
	v_cmp_le_u32_e32 vcc, s18, v7
	v_cndmask_b32_e64 v7, 0, -1, vcc
	v_cmp_eq_u32_e32 vcc, s19, v8
	v_cndmask_b32_e32 v7, v12, v7, vcc
	v_cmp_ne_u32_e32 vcc, 0, v7
	v_cndmask_b32_e64 v7, v13, v11, s[0:1]
	v_cndmask_b32_e32 v8, v9, v10, vcc
	v_cndmask_b32_e32 v7, v4, v7, vcc
.LBB0_4:                                ;   in Loop: Header=BB0_2 Depth=1
	s_andn2_saveexec_b64 s[0:1], s[20:21]
	s_cbranch_execz .LBB0_6
; %bb.5:                                ;   in Loop: Header=BB0_2 Depth=1
	v_cvt_f32_u32_e32 v4, s18
	s_sub_i32 s20, 0, s18
	v_rcp_iflag_f32_e32 v4, v4
	v_mul_f32_e32 v4, 0x4f7ffffe, v4
	v_cvt_u32_f32_e32 v4, v4
	v_mul_lo_u32 v7, s20, v4
	v_mul_hi_u32 v7, v4, v7
	v_add_u32_e32 v4, v4, v7
	v_mul_hi_u32 v4, v5, v4
	v_mul_lo_u32 v7, v4, s18
	v_add_u32_e32 v8, 1, v4
	v_sub_u32_e32 v7, v5, v7
	v_subrev_u32_e32 v9, s18, v7
	v_cmp_le_u32_e32 vcc, s18, v7
	v_cndmask_b32_e32 v7, v7, v9, vcc
	v_cndmask_b32_e32 v4, v4, v8, vcc
	v_add_u32_e32 v8, 1, v4
	v_cmp_le_u32_e32 vcc, s18, v7
	v_cndmask_b32_e32 v7, v4, v8, vcc
	v_mov_b32_e32 v8, v3
.LBB0_6:                                ;   in Loop: Header=BB0_2 Depth=1
	s_or_b64 exec, exec, s[0:1]
	v_mul_lo_u32 v4, v8, s18
	v_mul_lo_u32 v11, v7, s19
	v_mad_u64_u32 v[9:10], s[0:1], v7, s18, 0
	s_load_dwordx2 s[0:1], s[6:7], 0x0
	s_add_u32 s16, s16, 1
	v_add3_u32 v4, v10, v11, v4
	v_sub_co_u32_e32 v5, vcc, v5, v9
	v_subb_co_u32_e32 v4, vcc, v6, v4, vcc
	s_waitcnt lgkmcnt(0)
	v_mul_lo_u32 v4, s0, v4
	v_mul_lo_u32 v6, s1, v5
	v_mad_u64_u32 v[1:2], s[0:1], s0, v5, v[1:2]
	s_addc_u32 s17, s17, 0
	s_add_u32 s6, s6, 8
	v_add3_u32 v2, v6, v2, v4
	v_mov_b32_e32 v4, s10
	v_mov_b32_e32 v5, s11
	s_addc_u32 s7, s7, 0
	v_cmp_ge_u64_e32 vcc, s[16:17], v[4:5]
	s_add_u32 s14, s14, 8
	s_addc_u32 s15, s15, 0
	s_cbranch_vccnz .LBB0_9
; %bb.7:                                ;   in Loop: Header=BB0_2 Depth=1
	v_mov_b32_e32 v5, v7
	v_mov_b32_e32 v6, v8
	s_branch .LBB0_2
.LBB0_8:
	v_mov_b32_e32 v8, v6
	v_mov_b32_e32 v7, v5
.LBB0_9:
	s_lshl_b64 s[0:1], s[10:11], 3
	s_add_u32 s0, s12, s0
	s_addc_u32 s1, s13, s1
	s_load_dwordx2 s[6:7], s[0:1], 0x0
	s_load_dwordx2 s[10:11], s[4:5], 0x20
	s_waitcnt lgkmcnt(0)
	v_mad_u64_u32 v[1:2], s[0:1], s6, v7, v[1:2]
	v_mul_lo_u32 v3, s6, v8
	v_mul_lo_u32 v4, s7, v7
	s_mov_b32 s0, 0x15e75bc
	v_mul_hi_u32 v5, v0, s0
	v_cmp_gt_u64_e64 s[0:1], s[10:11], v[7:8]
	v_add3_u32 v2, v4, v2, v3
	v_lshlrev_b64 v[106:107], 4, v[1:2]
	v_mul_u32_u24_e32 v3, 0xbb, v5
	v_sub_u32_e32 v104, v0, v3
	s_and_saveexec_b64 s[4:5], s[0:1]
	s_cbranch_execz .LBB0_13
; %bb.10:
	v_mov_b32_e32 v105, 0
	v_mov_b32_e32 v0, s3
	v_add_co_u32_e32 v1, vcc, s2, v106
	v_lshlrev_b64 v[2:3], 4, v[104:105]
	v_addc_co_u32_e32 v0, vcc, v0, v107, vcc
	v_add_co_u32_e32 v18, vcc, v1, v2
	v_addc_co_u32_e32 v19, vcc, v0, v3, vcc
	v_add_co_u32_e32 v20, vcc, 0x1000, v18
	;; [unrolled: 2-line block ×6, first 2 shown]
	global_load_dwordx4 v[2:5], v[18:19], off
	global_load_dwordx4 v[6:9], v[18:19], off offset:2992
	global_load_dwordx4 v[10:13], v[20:21], off offset:1888
	;; [unrolled: 1-line block ×3, first 2 shown]
	v_addc_co_u32_e32 v41, vcc, 0, v19, vcc
	global_load_dwordx4 v[18:21], v[34:35], off offset:3776
	global_load_dwordx4 v[22:25], v[36:37], off offset:2672
	;; [unrolled: 1-line block ×4, first 2 shown]
	s_movk_i32 s6, 0xba
	v_lshl_add_u32 v34, v104, 4, 0
	v_cmp_eq_u32_e32 vcc, s6, v104
	s_waitcnt vmcnt(7)
	ds_write_b128 v34, v[2:5]
	s_waitcnt vmcnt(6)
	ds_write_b128 v34, v[6:9] offset:2992
	s_waitcnt vmcnt(5)
	ds_write_b128 v34, v[10:13] offset:5984
	;; [unrolled: 2-line block ×7, first 2 shown]
	s_and_saveexec_b64 s[6:7], vcc
	s_cbranch_execz .LBB0_12
; %bb.11:
	v_add_co_u32_e32 v1, vcc, 0x5000, v1
	v_addc_co_u32_e32 v2, vcc, 0, v0, vcc
	global_load_dwordx4 v[0:3], v[1:2], off offset:3456
	v_mov_b32_e32 v104, 0xba
	s_waitcnt vmcnt(0)
	ds_write_b128 v105, v[0:3] offset:23936
.LBB0_12:
	s_or_b64 exec, exec, s[6:7]
.LBB0_13:
	s_or_b64 exec, exec, s[4:5]
	v_lshlrev_b32_e32 v0, 4, v104
	v_add_u32_e32 v180, 0, v0
	s_waitcnt lgkmcnt(0)
	s_barrier
	v_sub_u32_e32 v10, 0, v0
	ds_read_b64 v[6:7], v180
	ds_read_b64 v[8:9], v10 offset:23936
	s_add_u32 s6, s8, 0x5c70
	s_addc_u32 s7, s9, 0
	v_cmp_ne_u32_e32 vcc, 0, v104
                                        ; implicit-def: $vgpr4_vgpr5
	s_waitcnt lgkmcnt(0)
	v_add_f64 v[0:1], v[6:7], v[8:9]
	v_add_f64 v[2:3], v[6:7], -v[8:9]
	s_and_saveexec_b64 s[4:5], vcc
	s_xor_b64 s[4:5], exec, s[4:5]
	s_cbranch_execz .LBB0_15
; %bb.14:
	v_mov_b32_e32 v105, 0
	v_lshlrev_b64 v[0:1], 4, v[104:105]
	v_mov_b32_e32 v2, s7
	v_add_co_u32_e32 v0, vcc, s6, v0
	v_addc_co_u32_e32 v1, vcc, v2, v1, vcc
	global_load_dwordx4 v[2:5], v[0:1], off
	ds_read_b64 v[0:1], v10 offset:23944
	ds_read_b64 v[11:12], v180 offset:8
	v_add_f64 v[13:14], v[6:7], v[8:9]
	v_add_f64 v[8:9], v[6:7], -v[8:9]
	s_waitcnt lgkmcnt(0)
	v_add_f64 v[15:16], v[0:1], v[11:12]
	v_add_f64 v[0:1], v[11:12], -v[0:1]
	s_waitcnt vmcnt(0)
	v_fma_f64 v[6:7], -v[8:9], v[4:5], v[13:14]
	v_fma_f64 v[11:12], v[15:16], v[4:5], -v[0:1]
	v_fma_f64 v[13:14], v[8:9], v[4:5], v[13:14]
	v_fma_f64 v[17:18], v[15:16], v[4:5], v[0:1]
	;; [unrolled: 1-line block ×4, first 2 shown]
	v_fma_f64 v[0:1], -v[15:16], v[2:3], v[13:14]
	v_fma_f64 v[2:3], v[8:9], v[2:3], v[17:18]
	ds_write_b128 v10, v[4:7] offset:23936
	v_mov_b32_e32 v4, v104
	v_mov_b32_e32 v5, v105
.LBB0_15:
	s_andn2_saveexec_b64 s[4:5], s[4:5]
	s_cbranch_execz .LBB0_17
; %bb.16:
	v_mov_b32_e32 v8, 0
	ds_read_b128 v[4:7], v8 offset:11968
	s_waitcnt lgkmcnt(0)
	v_add_f64 v[11:12], v[4:5], v[4:5]
	v_mul_f64 v[13:14], v[6:7], -2.0
	v_mov_b32_e32 v4, 0
	v_mov_b32_e32 v5, 0
	ds_write_b128 v8, v[11:14] offset:11968
.LBB0_17:
	s_or_b64 exec, exec, s[4:5]
	v_lshlrev_b64 v[4:5], 4, v[4:5]
	v_mov_b32_e32 v6, s7
	v_add_co_u32_e32 v8, vcc, s6, v4
	v_addc_co_u32_e32 v9, vcc, v6, v5, vcc
	global_load_dwordx4 v[4:7], v[8:9], off offset:2992
	s_movk_i32 s4, 0x1000
	v_add_co_u32_e32 v11, vcc, s4, v8
	v_addc_co_u32_e32 v12, vcc, 0, v9, vcc
	global_load_dwordx4 v[11:14], v[11:12], off offset:1888
	s_movk_i32 s4, 0x2000
	ds_write_b128 v180, v[0:3]
	v_add_co_u32_e32 v0, vcc, s4, v8
	v_addc_co_u32_e32 v1, vcc, 0, v9, vcc
	ds_read_b128 v[15:18], v180 offset:2992
	ds_read_b128 v[19:22], v10 offset:20944
	global_load_dwordx4 v[0:3], v[0:1], off offset:784
	s_mov_b32 s6, 0x4363dd80
	s_mov_b32 s4, 0x910ea3b9
	;; [unrolled: 1-line block ×3, first 2 shown]
	s_waitcnt lgkmcnt(0)
	v_add_f64 v[8:9], v[15:16], v[19:20]
	v_add_f64 v[23:24], v[21:22], v[17:18]
	v_add_f64 v[19:20], v[15:16], -v[19:20]
	v_add_f64 v[15:16], v[17:18], -v[21:22]
	s_mov_b32 s5, 0xbfeb34fa
	s_mov_b32 s10, 0x2b2883cd
	;; [unrolled: 1-line block ×45, first 2 shown]
	s_movk_i32 s33, 0x58
	v_cmp_gt_u32_e32 vcc, s33, v104
	s_waitcnt vmcnt(2)
	v_fma_f64 v[17:18], v[19:20], v[6:7], v[8:9]
	v_fma_f64 v[21:22], v[23:24], v[6:7], v[15:16]
	v_fma_f64 v[25:26], -v[19:20], v[6:7], v[8:9]
	v_fma_f64 v[27:28], v[23:24], v[6:7], -v[15:16]
	v_fma_f64 v[6:7], -v[23:24], v[4:5], v[17:18]
	v_fma_f64 v[8:9], v[19:20], v[4:5], v[21:22]
	v_fma_f64 v[15:16], v[23:24], v[4:5], v[25:26]
	;; [unrolled: 1-line block ×3, first 2 shown]
	ds_write_b128 v180, v[6:9] offset:2992
	ds_write_b128 v10, v[15:18] offset:20944
	ds_read_b128 v[4:7], v180 offset:5984
	ds_read_b128 v[15:18], v10 offset:17952
	s_waitcnt lgkmcnt(0)
	v_add_f64 v[8:9], v[4:5], v[15:16]
	v_add_f64 v[19:20], v[17:18], v[6:7]
	v_add_f64 v[15:16], v[4:5], -v[15:16]
	v_add_f64 v[4:5], v[6:7], -v[17:18]
	s_waitcnt vmcnt(1)
	v_fma_f64 v[6:7], v[15:16], v[13:14], v[8:9]
	v_fma_f64 v[17:18], v[19:20], v[13:14], v[4:5]
	v_fma_f64 v[8:9], -v[15:16], v[13:14], v[8:9]
	v_fma_f64 v[21:22], v[19:20], v[13:14], -v[4:5]
	v_fma_f64 v[4:5], -v[19:20], v[11:12], v[6:7]
	v_fma_f64 v[6:7], v[15:16], v[11:12], v[17:18]
	v_fma_f64 v[13:14], v[19:20], v[11:12], v[8:9]
	;; [unrolled: 1-line block ×3, first 2 shown]
	ds_write_b128 v180, v[4:7] offset:5984
	ds_write_b128 v10, v[13:16] offset:17952
	ds_read_b128 v[4:7], v180 offset:8976
	ds_read_b128 v[11:14], v10 offset:14960
	s_waitcnt lgkmcnt(0)
	v_add_f64 v[8:9], v[4:5], v[11:12]
	v_add_f64 v[15:16], v[13:14], v[6:7]
	v_add_f64 v[11:12], v[4:5], -v[11:12]
	v_add_f64 v[4:5], v[6:7], -v[13:14]
	s_waitcnt vmcnt(0)
	v_fma_f64 v[6:7], v[11:12], v[2:3], v[8:9]
	v_fma_f64 v[13:14], v[15:16], v[2:3], v[4:5]
	v_fma_f64 v[8:9], -v[11:12], v[2:3], v[8:9]
	v_fma_f64 v[17:18], v[15:16], v[2:3], -v[4:5]
	v_fma_f64 v[2:3], -v[15:16], v[0:1], v[6:7]
	v_fma_f64 v[4:5], v[11:12], v[0:1], v[13:14]
	v_fma_f64 v[6:7], v[15:16], v[0:1], v[8:9]
	v_fma_f64 v[8:9], v[11:12], v[0:1], v[17:18]
	ds_write_b128 v180, v[2:5] offset:8976
	ds_write_b128 v10, v[6:9] offset:14960
	s_waitcnt lgkmcnt(0)
	s_barrier
	s_barrier
	ds_read_b128 v[12:15], v180 offset:22528
	ds_read_b128 v[76:79], v180 offset:1408
	ds_read_b128 v[36:39], v180
	ds_read_b128 v[72:75], v180 offset:2816
	ds_read_b128 v[68:71], v180 offset:4224
	;; [unrolled: 1-line block ×14, first 2 shown]
	s_waitcnt lgkmcnt(14)
	v_add_f64 v[144:145], v[78:79], -v[14:15]
	v_add_f64 v[140:141], v[78:79], v[14:15]
	v_add_f64 v[132:133], v[76:77], v[12:13]
	s_waitcnt lgkmcnt(11)
	v_add_f64 v[138:139], v[74:75], -v[18:19]
	v_add_f64 v[170:171], v[76:77], -v[12:13]
	v_add_f64 v[136:137], v[74:75], v[18:19]
	v_add_f64 v[128:129], v[72:73], v[16:17]
	v_add_f64 v[166:167], v[72:73], -v[16:17]
	v_mul_f64 v[174:175], v[144:145], s[6:7]
	v_mul_f64 v[176:177], v[140:141], s[4:5]
	s_waitcnt lgkmcnt(10)
	v_add_f64 v[142:143], v[70:71], -v[22:23]
	v_add_f64 v[134:135], v[70:71], v[22:23]
	v_mul_f64 v[102:103], v[138:139], s[24:25]
	v_mul_f64 v[172:173], v[136:137], s[10:11]
	v_add_f64 v[126:127], v[68:69], v[20:21]
	v_add_f64 v[164:165], v[68:69], -v[20:21]
	v_fma_f64 v[0:1], v[132:133], s[4:5], -v[174:175]
	v_fma_f64 v[2:3], v[170:171], s[6:7], v[176:177]
	s_waitcnt lgkmcnt(7)
	v_add_f64 v[146:147], v[66:67], -v[26:27]
	v_add_f64 v[130:131], v[66:67], v[26:27]
	v_mul_f64 v[98:99], v[142:143], s[16:17]
	v_mul_f64 v[100:101], v[134:135], s[12:13]
	;; [unrolled: 1-line block ×3, first 2 shown]
	v_fma_f64 v[168:169], v[128:129], s[10:11], -v[102:103]
	v_fma_f64 v[178:179], v[166:167], s[24:25], v[172:173]
	v_add_f64 v[0:1], v[36:37], v[0:1]
	v_add_f64 v[2:3], v[38:39], v[2:3]
	v_add_f64 v[122:123], v[64:65], v[24:25]
	v_add_f64 v[162:163], v[64:65], -v[24:25]
	s_waitcnt lgkmcnt(6)
	v_add_f64 v[148:149], v[62:63], -v[30:31]
	v_add_f64 v[124:125], v[62:63], v[30:31]
	v_mul_f64 v[94:95], v[146:147], s[48:49]
	v_mul_f64 v[96:97], v[130:131], s[14:15]
	;; [unrolled: 1-line block ×4, first 2 shown]
	v_fma_f64 v[189:190], v[126:127], s[12:13], -v[98:99]
	v_fma_f64 v[191:192], v[164:165], s[16:17], v[100:101]
	v_add_f64 v[0:1], v[168:169], v[0:1]
	v_add_f64 v[2:3], v[178:179], v[2:3]
	v_fma_f64 v[199:200], v[132:133], s[22:23], v[4:5]
	v_add_f64 v[118:119], v[60:61], v[28:29]
	v_add_f64 v[160:161], v[60:61], -v[28:29]
	s_waitcnt lgkmcnt(3)
	v_add_f64 v[150:151], v[58:59], -v[34:35]
	v_add_f64 v[120:121], v[58:59], v[34:35]
	v_mul_f64 v[90:91], v[148:149], s[20:21]
	v_mul_f64 v[92:93], v[124:125], s[18:19]
	;; [unrolled: 1-line block ×4, first 2 shown]
	v_fma_f64 v[168:169], v[122:123], s[14:15], -v[94:95]
	v_fma_f64 v[193:194], v[162:163], s[48:49], v[96:97]
	v_add_f64 v[0:1], v[189:190], v[0:1]
	v_add_f64 v[2:3], v[191:192], v[2:3]
	v_fma_f64 v[203:204], v[128:129], s[18:19], v[6:7]
	v_fma_f64 v[205:206], v[170:171], s[52:53], v[8:9]
	v_add_f64 v[199:200], v[36:37], v[199:200]
	v_add_f64 v[114:115], v[56:57], v[32:33]
	v_add_f64 v[158:159], v[56:57], -v[32:33]
	v_mul_f64 v[82:83], v[150:151], s[26:27]
	v_mul_f64 v[88:89], v[120:121], s[22:23]
	;; [unrolled: 1-line block ×4, first 2 shown]
	v_fma_f64 v[195:196], v[118:119], s[18:19], -v[90:91]
	v_fma_f64 v[197:198], v[160:161], s[20:21], v[92:93]
	v_add_f64 v[0:1], v[168:169], v[0:1]
	v_add_f64 v[2:3], v[193:194], v[2:3]
	v_fma_f64 v[193:194], v[166:167], s[20:21], v[10:11]
	v_fma_f64 v[207:208], v[126:127], s[4:5], v[181:182]
	v_add_f64 v[205:206], v[38:39], v[205:206]
	v_add_f64 v[199:200], v[203:204], v[199:200]
	v_fma_f64 v[4:5], v[132:133], s[22:23], -v[4:5]
	v_fma_f64 v[8:9], v[170:171], s[26:27], v[8:9]
	v_mul_f64 v[187:188], v[130:131], s[28:29]
	v_mul_f64 v[178:179], v[148:149], s[40:41]
	v_fma_f64 v[189:190], v[114:115], s[22:23], -v[82:83]
	v_fma_f64 v[191:192], v[158:159], s[26:27], v[88:89]
	v_fma_f64 v[209:210], v[164:165], s[46:47], v[183:184]
	v_add_f64 v[0:1], v[195:196], v[0:1]
	v_add_f64 v[2:3], v[197:198], v[2:3]
	v_fma_f64 v[195:196], v[122:123], s[28:29], v[185:186]
	v_add_f64 v[193:194], v[193:194], v[205:206]
	v_add_f64 v[199:200], v[207:208], v[199:200]
	v_fma_f64 v[6:7], v[128:129], s[18:19], -v[6:7]
	v_fma_f64 v[10:11], v[166:167], s[36:37], v[10:11]
	v_add_f64 v[4:5], v[36:37], v[4:5]
	v_add_f64 v[8:9], v[38:39], v[8:9]
	v_fma_f64 v[197:198], v[162:163], s[38:39], v[187:188]
	v_add_f64 v[0:1], v[189:190], v[0:1]
	v_add_f64 v[2:3], v[191:192], v[2:3]
	;; [unrolled: 1-line block ×4, first 2 shown]
	v_mul_f64 v[193:194], v[124:125], s[14:15]
	v_fma_f64 v[195:196], v[118:119], s[14:15], v[178:179]
	v_add_f64 v[4:5], v[6:7], v[4:5]
	v_add_f64 v[6:7], v[10:11], v[8:9]
	v_fma_f64 v[8:9], v[126:127], s[4:5], -v[181:182]
	v_fma_f64 v[10:11], v[164:165], s[6:7], v[183:184]
	s_waitcnt lgkmcnt(2)
	v_add_f64 v[116:117], v[54:55], v[42:43]
	v_add_f64 v[181:182], v[197:198], v[189:190]
	v_fma_f64 v[183:184], v[160:161], s[48:49], v[193:194]
	v_add_f64 v[191:192], v[195:196], v[191:192]
	v_mul_f64 v[195:196], v[120:121], s[10:11]
	v_add_f64 v[152:153], v[54:55], -v[42:43]
	v_add_f64 v[4:5], v[8:9], v[4:5]
	v_add_f64 v[6:7], v[10:11], v[6:7]
	v_fma_f64 v[8:9], v[122:123], s[28:29], -v[185:186]
	v_fma_f64 v[10:11], v[162:163], s[50:51], v[187:188]
	v_add_f64 v[156:157], v[52:53], -v[40:41]
	v_mul_f64 v[84:85], v[116:117], s[28:29]
	v_mul_f64 v[189:190], v[150:151], s[24:25]
	v_add_f64 v[181:182], v[183:184], v[181:182]
	v_fma_f64 v[185:186], v[158:159], s[44:45], v[195:196]
	v_add_f64 v[112:113], v[52:53], v[40:41]
	v_add_f64 v[4:5], v[8:9], v[4:5]
	;; [unrolled: 1-line block ×3, first 2 shown]
	v_fma_f64 v[8:9], v[118:119], s[14:15], -v[178:179]
	v_fma_f64 v[10:11], v[160:161], s[40:41], v[193:194]
	s_waitcnt lgkmcnt(0)
	v_add_f64 v[154:155], v[50:51], -v[46:47]
	v_add_f64 v[110:111], v[50:51], v[46:47]
	v_mul_f64 v[80:81], v[152:153], s[50:51]
	v_fma_f64 v[168:169], v[156:157], s[50:51], v[84:85]
	v_fma_f64 v[183:184], v[114:115], s[10:11], v[189:190]
	v_mul_f64 v[187:188], v[152:153], s[34:35]
	v_add_f64 v[181:182], v[185:186], v[181:182]
	v_mul_f64 v[185:186], v[116:117], s[30:31]
	v_add_f64 v[4:5], v[8:9], v[4:5]
	v_add_f64 v[6:7], v[10:11], v[6:7]
	v_fma_f64 v[8:9], v[114:115], s[10:11], -v[189:190]
	v_fma_f64 v[10:11], v[158:159], s[24:25], v[195:196]
	v_add_f64 v[108:109], v[48:49], v[44:45]
	v_mul_f64 v[86:87], v[154:155], s[34:35]
	v_fma_f64 v[201:202], v[112:113], s[28:29], -v[80:81]
	v_add_f64 v[2:3], v[168:169], v[2:3]
	v_add_f64 v[168:169], v[48:49], -v[44:45]
	v_mul_f64 v[178:179], v[110:111], s[30:31]
	v_add_f64 v[183:184], v[183:184], v[191:192]
	v_fma_f64 v[191:192], v[112:113], s[30:31], v[187:188]
	v_fma_f64 v[189:190], v[156:157], s[54:55], v[185:186]
	v_mul_f64 v[193:194], v[154:155], s[56:57]
	v_mul_f64 v[195:196], v[110:111], s[12:13]
	v_add_f64 v[4:5], v[8:9], v[4:5]
	v_add_f64 v[6:7], v[10:11], v[6:7]
	v_fma_f64 v[8:9], v[112:113], s[30:31], -v[187:188]
	v_fma_f64 v[10:11], v[156:157], s[34:35], v[185:186]
	v_add_f64 v[0:1], v[201:202], v[0:1]
	v_fma_f64 v[185:186], v[108:109], s[30:31], -v[86:87]
	v_fma_f64 v[187:188], v[168:169], s[34:35], v[178:179]
	v_add_f64 v[183:184], v[191:192], v[183:184]
	v_add_f64 v[181:182], v[189:190], v[181:182]
	v_fma_f64 v[189:190], v[108:109], s[12:13], v[193:194]
	v_fma_f64 v[191:192], v[168:169], s[16:17], v[195:196]
	v_add_f64 v[4:5], v[8:9], v[4:5]
	v_add_f64 v[6:7], v[10:11], v[6:7]
	v_fma_f64 v[193:194], v[108:109], s[12:13], -v[193:194]
	v_fma_f64 v[195:196], v[168:169], s[56:57], v[195:196]
	v_add_f64 v[8:9], v[185:186], v[0:1]
	v_add_f64 v[10:11], v[187:188], v[2:3]
	;; [unrolled: 1-line block ×4, first 2 shown]
	s_barrier
	v_add_f64 v[4:5], v[193:194], v[4:5]
	v_add_f64 v[6:7], v[195:196], v[6:7]
	s_and_saveexec_b64 s[42:43], vcc
	s_cbranch_execz .LBB0_19
; %bb.18:
	v_mul_f64 v[181:182], v[170:171], s[6:7]
	v_mul_f64 v[183:184], v[132:133], s[4:5]
	;; [unrolled: 1-line block ×8, first 2 shown]
	v_add_f64 v[176:177], v[176:177], -v[181:182]
	v_add_f64 v[174:175], v[183:184], v[174:175]
	v_add_f64 v[172:173], v[172:173], -v[187:188]
	v_mul_f64 v[181:182], v[162:163], s[48:49]
	v_add_f64 v[102:103], v[185:186], v[102:103]
	v_add_f64 v[100:101], v[100:101], -v[191:192]
	v_add_f64 v[98:99], v[189:190], v[98:99]
	v_mul_f64 v[183:184], v[118:119], s[18:19]
	v_add_f64 v[176:177], v[38:39], v[176:177]
	v_add_f64 v[174:175], v[36:37], v[174:175]
	v_mul_f64 v[185:186], v[158:159], s[26:27]
	v_add_f64 v[96:97], v[96:97], -v[181:182]
	v_add_f64 v[94:95], v[193:194], v[94:95]
	v_add_f64 v[92:93], v[92:93], -v[195:196]
	v_mul_f64 v[197:198], v[114:115], s[22:23]
	v_mul_f64 v[187:188], v[112:113], s[28:29]
	v_add_f64 v[172:173], v[172:173], v[176:177]
	v_add_f64 v[102:103], v[102:103], v[174:175]
	v_mul_f64 v[199:200], v[156:157], s[50:51]
	v_mul_f64 v[174:175], v[168:169], s[34:35]
	v_add_f64 v[90:91], v[183:184], v[90:91]
	v_mul_f64 v[183:184], v[144:145], s[40:41]
	v_add_f64 v[88:89], v[88:89], -v[185:186]
	v_mul_f64 v[193:194], v[166:167], s[54:55]
	v_add_f64 v[100:101], v[100:101], v[172:173]
	v_add_f64 v[98:99], v[98:99], v[102:103]
	;; [unrolled: 1-line block ×3, first 2 shown]
	v_add_f64 v[174:175], v[178:179], -v[174:175]
	v_add_f64 v[84:85], v[84:85], -v[199:200]
	v_add_f64 v[80:81], v[187:188], v[80:81]
	v_fma_f64 v[187:188], v[132:133], s[14:15], -v[183:184]
	v_mul_f64 v[181:182], v[164:165], s[20:21]
	v_add_f64 v[96:97], v[96:97], v[100:101]
	v_add_f64 v[94:95], v[94:95], v[98:99]
	v_mul_f64 v[98:99], v[170:171], s[40:41]
	v_mul_f64 v[100:101], v[138:139], s[54:55]
	v_fma_f64 v[185:186], v[136:137], s[30:31], v[193:194]
	v_fma_f64 v[193:194], v[136:137], s[30:31], -v[193:194]
	v_add_f64 v[187:188], v[36:37], v[187:188]
	v_mul_f64 v[172:173], v[162:163], s[6:7]
	v_add_f64 v[92:93], v[92:93], v[96:97]
	v_add_f64 v[90:91], v[90:91], v[94:95]
	v_fma_f64 v[178:179], v[140:141], s[14:15], v[98:99]
	v_fma_f64 v[98:99], v[140:141], s[14:15], -v[98:99]
	v_fma_f64 v[195:196], v[128:129], s[30:31], -v[100:101]
	v_fma_f64 v[100:101], v[128:129], s[30:31], v[100:101]
	v_mul_f64 v[102:103], v[160:161], s[56:57]
	v_mul_f64 v[191:192], v[158:159], s[38:39]
	v_add_f64 v[88:89], v[88:89], v[92:93]
	v_add_f64 v[82:83], v[82:83], v[90:91]
	;; [unrolled: 1-line block ×5, first 2 shown]
	v_fma_f64 v[92:93], v[130:131], s[4:5], v[172:173]
	v_fma_f64 v[172:173], v[130:131], s[4:5], -v[172:173]
	v_fma_f64 v[90:91], v[124:125], s[12:13], v[102:103]
	v_add_f64 v[84:85], v[84:85], v[88:89]
	v_fma_f64 v[88:89], v[132:133], s[14:15], v[183:184]
	v_mul_f64 v[183:184], v[142:143], s[20:21]
	v_add_f64 v[80:81], v[80:81], v[82:83]
	v_fma_f64 v[82:83], v[134:135], s[18:19], v[181:182]
	v_add_f64 v[178:179], v[185:186], v[178:179]
	v_mul_f64 v[185:186], v[146:147], s[6:7]
	v_fma_f64 v[181:182], v[134:135], s[18:19], -v[181:182]
	v_add_f64 v[98:99], v[193:194], v[98:99]
	v_add_f64 v[88:89], v[36:37], v[88:89]
	v_fma_f64 v[197:198], v[126:127], s[18:19], -v[183:184]
	v_fma_f64 v[102:103], v[124:125], s[12:13], -v[102:103]
	v_mul_f64 v[189:190], v[156:157], s[26:27]
	v_add_f64 v[82:83], v[82:83], v[178:179]
	v_fma_f64 v[178:179], v[126:127], s[18:19], v[183:184]
	v_fma_f64 v[183:184], v[122:123], s[4:5], -v[185:186]
	v_add_f64 v[98:99], v[181:182], v[98:99]
	v_add_f64 v[88:89], v[100:101], v[88:89]
	v_mul_f64 v[100:101], v[148:149], s[56:57]
	v_add_f64 v[187:188], v[197:198], v[187:188]
	v_fma_f64 v[96:97], v[120:121], s[28:29], v[191:192]
	v_add_f64 v[82:83], v[92:93], v[82:83]
	v_fma_f64 v[92:93], v[122:123], s[4:5], v[185:186]
	v_mul_f64 v[176:177], v[168:169], s[24:25]
	v_add_f64 v[98:99], v[172:173], v[98:99]
	v_add_f64 v[88:89], v[178:179], v[88:89]
	v_mul_f64 v[178:179], v[150:151], s[38:39]
	v_fma_f64 v[181:182], v[118:119], s[12:13], -v[100:101]
	v_add_f64 v[183:184], v[183:184], v[187:188]
	v_add_f64 v[82:83], v[90:91], v[82:83]
	v_fma_f64 v[90:91], v[118:119], s[12:13], v[100:101]
	v_mul_f64 v[201:202], v[108:109], s[30:31]
	v_add_f64 v[98:99], v[102:103], v[98:99]
	v_add_f64 v[88:89], v[92:93], v[88:89]
	v_mul_f64 v[92:93], v[152:153], s[26:27]
	v_fma_f64 v[100:101], v[114:115], s[28:29], -v[178:179]
	v_add_f64 v[172:173], v[181:182], v[183:184]
	v_fma_f64 v[181:182], v[120:121], s[28:29], -v[191:192]
	v_add_f64 v[82:83], v[96:97], v[82:83]
	v_fma_f64 v[96:97], v[114:115], s[28:29], v[178:179]
	v_add_f64 v[94:95], v[201:202], v[86:87]
	v_add_f64 v[88:89], v[90:91], v[88:89]
	v_fma_f64 v[102:103], v[112:113], s[22:23], -v[92:93]
	v_mul_f64 v[90:91], v[154:155], s[24:25]
	v_add_f64 v[100:101], v[100:101], v[172:173]
	v_fma_f64 v[172:173], v[116:117], s[22:23], -v[189:190]
	v_add_f64 v[98:99], v[181:182], v[98:99]
	v_fma_f64 v[92:93], v[112:113], s[22:23], v[92:93]
	v_fma_f64 v[86:87], v[116:117], s[22:23], v[189:190]
	v_add_f64 v[88:89], v[96:97], v[88:89]
	v_fma_f64 v[178:179], v[110:111], s[10:11], v[176:177]
	v_fma_f64 v[96:97], v[108:109], s[10:11], -v[90:91]
	v_add_f64 v[100:101], v[102:103], v[100:101]
	v_fma_f64 v[102:103], v[110:111], s[10:11], -v[176:177]
	v_add_f64 v[98:99], v[172:173], v[98:99]
	v_fma_f64 v[172:173], v[108:109], s[10:11], v[90:91]
	v_add_f64 v[82:83], v[86:87], v[82:83]
	v_add_f64 v[88:89], v[92:93], v[88:89]
	v_mul_f64 v[92:93], v[170:171], s[34:35]
	v_add_f64 v[86:87], v[174:175], v[84:85]
	v_add_f64 v[84:85], v[94:95], v[80:81]
	;; [unrolled: 1-line block ×4, first 2 shown]
	v_mul_f64 v[98:99], v[144:145], s[34:35]
	v_mul_f64 v[96:97], v[166:167], s[46:47]
	;; [unrolled: 1-line block ×3, first 2 shown]
	v_fma_f64 v[100:101], v[140:141], s[30:31], v[92:93]
	v_add_f64 v[82:83], v[178:179], v[82:83]
	v_mul_f64 v[174:175], v[164:165], s[50:51]
	v_fma_f64 v[92:93], v[140:141], s[30:31], -v[92:93]
	v_mul_f64 v[191:192], v[142:143], s[50:51]
	v_fma_f64 v[183:184], v[132:133], s[30:31], -v[98:99]
	v_fma_f64 v[178:179], v[136:137], s[4:5], v[96:97]
	v_fma_f64 v[193:194], v[128:129], s[4:5], -v[181:182]
	v_add_f64 v[100:101], v[38:39], v[100:101]
	v_mul_f64 v[187:188], v[162:163], s[44:45]
	v_fma_f64 v[189:190], v[134:135], s[28:29], v[174:175]
	v_fma_f64 v[96:97], v[136:137], s[4:5], -v[96:97]
	v_add_f64 v[92:93], v[38:39], v[92:93]
	v_add_f64 v[183:184], v[36:37], v[183:184]
	v_mul_f64 v[197:198], v[146:147], s[44:45]
	v_fma_f64 v[199:200], v[126:127], s[28:29], -v[191:192]
	v_add_f64 v[100:101], v[178:179], v[100:101]
	v_mul_f64 v[178:179], v[160:161], s[26:27]
	v_fma_f64 v[195:196], v[130:131], s[10:11], v[187:188]
	v_fma_f64 v[174:175], v[134:135], s[28:29], -v[174:175]
	v_fma_f64 v[98:99], v[132:133], s[30:31], v[98:99]
	v_add_f64 v[183:184], v[193:194], v[183:184]
	v_add_f64 v[92:93], v[96:97], v[92:93]
	v_mul_f64 v[96:97], v[148:149], s[26:27]
	v_add_f64 v[100:101], v[189:190], v[100:101]
	v_fma_f64 v[193:194], v[122:123], s[10:11], -v[197:198]
	v_mul_f64 v[102:103], v[158:159], s[56:57]
	v_fma_f64 v[189:190], v[124:125], s[22:23], v[178:179]
	v_fma_f64 v[187:188], v[130:131], s[10:11], -v[187:188]
	v_add_f64 v[183:184], v[199:200], v[183:184]
	v_fma_f64 v[181:182], v[128:129], s[4:5], v[181:182]
	v_add_f64 v[98:99], v[36:37], v[98:99]
	v_add_f64 v[100:101], v[195:196], v[100:101]
	;; [unrolled: 1-line block ×3, first 2 shown]
	v_mul_f64 v[174:175], v[150:151], s[56:57]
	v_fma_f64 v[195:196], v[118:119], s[22:23], -v[96:97]
	v_mul_f64 v[94:95], v[156:157], s[20:21]
	v_add_f64 v[183:184], v[193:194], v[183:184]
	v_fma_f64 v[185:186], v[120:121], s[12:13], v[102:103]
	v_fma_f64 v[178:179], v[124:125], s[22:23], -v[178:179]
	v_add_f64 v[100:101], v[189:190], v[100:101]
	v_fma_f64 v[189:190], v[126:127], s[28:29], v[191:192]
	v_add_f64 v[98:99], v[181:182], v[98:99]
	v_add_f64 v[92:93], v[187:188], v[92:93]
	v_mul_f64 v[181:182], v[152:153], s[20:21]
	v_fma_f64 v[187:188], v[114:115], s[12:13], -v[174:175]
	v_add_f64 v[183:184], v[195:196], v[183:184]
	v_fma_f64 v[176:177], v[116:117], s[18:19], v[94:95]
	v_add_f64 v[100:101], v[185:186], v[100:101]
	v_fma_f64 v[102:103], v[120:121], s[12:13], -v[102:103]
	v_fma_f64 v[185:186], v[122:123], s[10:11], v[197:198]
	v_add_f64 v[98:99], v[189:190], v[98:99]
	v_add_f64 v[92:93], v[178:179], v[92:93]
	v_mul_f64 v[178:179], v[154:155], s[40:41]
	v_fma_f64 v[189:190], v[112:113], s[18:19], -v[181:182]
	v_add_f64 v[183:184], v[187:188], v[183:184]
	v_add_f64 v[88:89], v[172:173], v[88:89]
	v_mul_f64 v[172:173], v[168:169], s[40:41]
	v_fma_f64 v[94:95], v[116:117], s[18:19], -v[94:95]
	v_fma_f64 v[96:97], v[118:119], s[22:23], v[96:97]
	v_add_f64 v[98:99], v[185:186], v[98:99]
	v_add_f64 v[92:93], v[102:103], v[92:93]
	;; [unrolled: 1-line block ×3, first 2 shown]
	v_fma_f64 v[102:103], v[108:109], s[14:15], -v[178:179]
	v_add_f64 v[176:177], v[189:190], v[183:184]
	v_fma_f64 v[187:188], v[110:111], s[14:15], v[172:173]
	v_mul_f64 v[183:184], v[170:171], s[16:17]
	v_fma_f64 v[172:173], v[110:111], s[14:15], -v[172:173]
	v_add_f64 v[96:97], v[96:97], v[98:99]
	v_add_f64 v[98:99], v[94:95], v[92:93]
	v_fma_f64 v[174:175], v[114:115], s[12:13], v[174:175]
	v_mul_f64 v[185:186], v[138:139], s[26:27]
	v_add_f64 v[92:93], v[102:103], v[176:177]
	v_mul_f64 v[102:103], v[144:145], s[16:17]
	v_add_f64 v[94:95], v[187:188], v[100:101]
	v_mul_f64 v[100:101], v[166:167], s[26:27]
	v_fma_f64 v[176:177], v[140:141], s[12:13], v[183:184]
	v_fma_f64 v[181:182], v[112:113], s[18:19], v[181:182]
	v_add_f64 v[96:97], v[174:175], v[96:97]
	v_add_f64 v[98:99], v[172:173], v[98:99]
	v_mul_f64 v[172:173], v[164:165], s[54:55]
	v_fma_f64 v[187:188], v[132:133], s[12:13], -v[102:103]
	v_mul_f64 v[191:192], v[142:143], s[54:55]
	v_fma_f64 v[174:175], v[136:137], s[22:23], v[100:101]
	v_add_f64 v[176:177], v[38:39], v[176:177]
	v_fma_f64 v[193:194], v[128:129], s[22:23], -v[185:186]
	v_add_f64 v[96:97], v[181:182], v[96:97]
	v_mul_f64 v[181:182], v[162:163], s[36:37]
	v_fma_f64 v[189:190], v[134:135], s[30:31], v[172:173]
	v_add_f64 v[187:188], v[36:37], v[187:188]
	v_mul_f64 v[199:200], v[146:147], s[36:37]
	v_fma_f64 v[201:202], v[126:127], s[30:31], -v[191:192]
	v_add_f64 v[174:175], v[174:175], v[176:177]
	v_fma_f64 v[183:184], v[140:141], s[12:13], -v[183:184]
	v_mul_f64 v[195:196], v[160:161], s[44:45]
	v_fma_f64 v[197:198], v[130:131], s[18:19], v[181:182]
	v_mul_f64 v[203:204], v[148:149], s[44:45]
	v_add_f64 v[187:188], v[193:194], v[187:188]
	v_fma_f64 v[205:206], v[122:123], s[18:19], -v[199:200]
	v_fma_f64 v[100:101], v[136:137], s[22:23], -v[100:101]
	v_add_f64 v[174:175], v[189:190], v[174:175]
	v_add_f64 v[183:184], v[38:39], v[183:184]
	v_mul_f64 v[189:190], v[158:159], s[6:7]
	v_fma_f64 v[193:194], v[124:125], s[10:11], v[195:196]
	v_mul_f64 v[207:208], v[150:151], s[6:7]
	v_add_f64 v[187:188], v[201:202], v[187:188]
	v_fma_f64 v[209:210], v[118:119], s[10:11], -v[203:204]
	v_fma_f64 v[172:173], v[134:135], s[30:31], -v[172:173]
	v_add_f64 v[174:175], v[197:198], v[174:175]
	v_add_f64 v[100:101], v[100:101], v[183:184]
	v_mul_f64 v[197:198], v[156:157], s[48:49]
	v_fma_f64 v[201:202], v[120:121], s[4:5], v[189:190]
	v_fma_f64 v[181:182], v[130:131], s[18:19], -v[181:182]
	v_add_f64 v[183:184], v[205:206], v[187:188]
	v_fma_f64 v[205:206], v[114:115], s[4:5], -v[207:208]
	v_fma_f64 v[102:103], v[132:133], s[12:13], v[102:103]
	v_add_f64 v[174:175], v[193:194], v[174:175]
	v_mul_f64 v[193:194], v[152:153], s[48:49]
	v_add_f64 v[100:101], v[172:173], v[100:101]
	v_mul_f64 v[176:177], v[168:169], s[50:51]
	v_fma_f64 v[187:188], v[116:117], s[14:15], v[197:198]
	v_add_f64 v[172:173], v[209:210], v[183:184]
	v_mul_f64 v[183:184], v[154:155], s[50:51]
	v_fma_f64 v[195:196], v[124:125], s[10:11], -v[195:196]
	v_add_f64 v[174:175], v[201:202], v[174:175]
	v_fma_f64 v[201:202], v[112:113], s[14:15], -v[193:194]
	v_fma_f64 v[185:186], v[128:129], s[22:23], v[185:186]
	v_add_f64 v[102:103], v[36:37], v[102:103]
	v_add_f64 v[100:101], v[181:182], v[100:101]
	;; [unrolled: 1-line block ×3, first 2 shown]
	v_fma_f64 v[178:179], v[108:109], s[14:15], v[178:179]
	v_fma_f64 v[181:182], v[110:111], s[28:29], v[176:177]
	v_add_f64 v[174:175], v[187:188], v[174:175]
	v_fma_f64 v[187:188], v[108:109], s[28:29], -v[183:184]
	v_fma_f64 v[189:190], v[120:121], s[4:5], -v[189:190]
	v_fma_f64 v[191:192], v[126:127], s[30:31], v[191:192]
	v_add_f64 v[185:186], v[185:186], v[102:103]
	v_add_f64 v[100:101], v[195:196], v[100:101]
	v_add_f64 v[172:173], v[201:202], v[172:173]
	v_add_f64 v[96:97], v[178:179], v[96:97]
	v_add_f64 v[102:103], v[181:182], v[174:175]
	v_fma_f64 v[174:175], v[116:117], s[14:15], -v[197:198]
	v_fma_f64 v[178:179], v[122:123], s[18:19], v[199:200]
	v_mul_f64 v[181:182], v[170:171], s[44:45]
	v_add_f64 v[185:186], v[191:192], v[185:186]
	v_add_f64 v[189:190], v[189:190], v[100:101]
	;; [unrolled: 1-line block ×3, first 2 shown]
	v_fma_f64 v[172:173], v[110:111], s[28:29], -v[176:177]
	v_mul_f64 v[176:177], v[144:145], s[44:45]
	v_fma_f64 v[187:188], v[118:119], s[10:11], v[203:204]
	v_mul_f64 v[191:192], v[166:167], s[40:41]
	v_fma_f64 v[195:196], v[140:141], s[10:11], v[181:182]
	v_add_f64 v[178:179], v[178:179], v[185:186]
	v_add_f64 v[174:175], v[174:175], v[189:190]
	v_mul_f64 v[189:190], v[138:139], s[40:41]
	v_fma_f64 v[185:186], v[114:115], s[4:5], v[207:208]
	v_fma_f64 v[197:198], v[132:133], s[10:11], -v[176:177]
	v_mul_f64 v[199:200], v[164:165], s[52:53]
	v_fma_f64 v[201:202], v[136:137], s[14:15], v[191:192]
	v_add_f64 v[195:196], v[38:39], v[195:196]
	v_add_f64 v[178:179], v[187:188], v[178:179]
	v_fma_f64 v[187:188], v[112:113], s[14:15], v[193:194]
	v_mul_f64 v[193:194], v[142:143], s[52:53]
	v_fma_f64 v[203:204], v[128:129], s[14:15], -v[189:190]
	v_add_f64 v[197:198], v[36:37], v[197:198]
	v_mul_f64 v[205:206], v[162:163], s[54:55]
	v_fma_f64 v[207:208], v[134:135], s[22:23], v[199:200]
	v_add_f64 v[195:196], v[201:202], v[195:196]
	v_add_f64 v[178:179], v[185:186], v[178:179]
	v_mul_f64 v[185:186], v[146:147], s[54:55]
	v_fma_f64 v[201:202], v[126:127], s[22:23], -v[193:194]
	v_fma_f64 v[181:182], v[140:141], s[10:11], -v[181:182]
	v_add_f64 v[197:198], v[203:204], v[197:198]
	v_mul_f64 v[203:204], v[160:161], s[50:51]
	v_fma_f64 v[209:210], v[130:131], s[30:31], v[205:206]
	v_add_f64 v[195:196], v[207:208], v[195:196]
	v_mul_f64 v[207:208], v[148:149], s[50:51]
	v_fma_f64 v[211:212], v[122:123], s[30:31], -v[185:186]
	v_fma_f64 v[191:192], v[136:137], s[14:15], -v[191:192]
	v_add_f64 v[181:182], v[38:39], v[181:182]
	v_add_f64 v[197:198], v[201:202], v[197:198]
	v_mul_f64 v[201:202], v[158:159], s[20:21]
	v_fma_f64 v[213:214], v[124:125], s[28:29], v[203:204]
	v_add_f64 v[195:196], v[209:210], v[195:196]
	v_mul_f64 v[209:210], v[150:151], s[20:21]
	v_fma_f64 v[215:216], v[118:119], s[28:29], -v[207:208]
	v_fma_f64 v[199:200], v[134:135], s[22:23], -v[199:200]
	v_add_f64 v[181:182], v[191:192], v[181:182]
	;; [unrolled: 8-line block ×3, first 2 shown]
	v_add_f64 v[191:192], v[215:216], v[191:192]
	v_add_f64 v[78:79], v[38:39], v[78:79]
	;; [unrolled: 1-line block ×3, first 2 shown]
	v_mul_f64 v[199:200], v[168:169], s[6:7]
	v_fma_f64 v[215:216], v[116:117], s[12:13], v[197:198]
	v_add_f64 v[195:196], v[211:212], v[195:196]
	v_mul_f64 v[211:212], v[154:155], s[6:7]
	v_fma_f64 v[219:220], v[112:113], s[12:13], -v[213:214]
	v_fma_f64 v[203:204], v[124:125], s[28:29], -v[203:204]
	v_add_f64 v[181:182], v[205:206], v[181:182]
	v_add_f64 v[191:192], v[217:218], v[191:192]
	v_fma_f64 v[183:184], v[108:109], s[28:29], v[183:184]
	v_add_f64 v[178:179], v[187:188], v[178:179]
	v_add_f64 v[74:75], v[78:79], v[74:75]
	;; [unrolled: 1-line block ×3, first 2 shown]
	v_fma_f64 v[187:188], v[110:111], s[4:5], v[199:200]
	v_add_f64 v[195:196], v[215:216], v[195:196]
	v_fma_f64 v[205:206], v[108:109], s[4:5], -v[211:212]
	v_fma_f64 v[201:202], v[120:121], s[18:19], -v[201:202]
	v_add_f64 v[181:182], v[203:204], v[181:182]
	v_add_f64 v[191:192], v[219:220], v[191:192]
	;; [unrolled: 1-line block ×4, first 2 shown]
	v_fma_f64 v[183:184], v[132:133], s[10:11], v[176:177]
	v_add_f64 v[70:71], v[74:75], v[70:71]
	v_add_f64 v[68:69], v[72:73], v[68:69]
	;; [unrolled: 1-line block ×3, first 2 shown]
	v_fma_f64 v[187:188], v[116:117], s[12:13], -v[197:198]
	v_mul_f64 v[195:196], v[170:171], s[38:39]
	v_add_f64 v[181:182], v[201:202], v[181:182]
	v_add_f64 v[176:177], v[205:206], v[191:192]
	v_fma_f64 v[189:190], v[128:129], s[14:15], v[189:190]
	v_mul_f64 v[191:192], v[144:145], s[38:39]
	v_add_f64 v[183:184], v[36:37], v[183:184]
	v_add_f64 v[66:67], v[70:71], v[66:67]
	;; [unrolled: 1-line block ×3, first 2 shown]
	v_fma_f64 v[197:198], v[110:111], s[4:5], -v[199:200]
	v_mul_f64 v[199:200], v[166:167], s[16:17]
	v_fma_f64 v[201:202], v[140:141], s[28:29], v[195:196]
	v_add_f64 v[181:182], v[187:188], v[181:182]
	v_fma_f64 v[187:188], v[126:127], s[22:23], v[193:194]
	v_mul_f64 v[193:194], v[138:139], s[16:17]
	v_fma_f64 v[203:204], v[132:133], s[28:29], -v[191:192]
	v_add_f64 v[183:184], v[189:190], v[183:184]
	v_add_f64 v[62:63], v[66:67], v[62:63]
	;; [unrolled: 1-line block ×3, first 2 shown]
	v_fma_f64 v[205:206], v[136:137], s[12:13], v[199:200]
	v_add_f64 v[201:202], v[38:39], v[201:202]
	v_fma_f64 v[185:186], v[122:123], s[30:31], v[185:186]
	v_mul_f64 v[215:216], v[142:143], s[40:41]
	v_fma_f64 v[217:218], v[128:129], s[12:13], -v[193:194]
	v_add_f64 v[203:204], v[36:37], v[203:204]
	v_add_f64 v[183:184], v[187:188], v[183:184]
	;; [unrolled: 1-line block ×5, first 2 shown]
	v_fma_f64 v[205:206], v[118:119], s[28:29], v[207:208]
	v_mul_f64 v[207:208], v[146:147], s[26:27]
	v_fma_f64 v[221:222], v[126:127], s[14:15], -v[215:216]
	v_add_f64 v[203:204], v[217:218], v[203:204]
	v_add_f64 v[183:184], v[185:186], v[183:184]
	v_fma_f64 v[195:196], v[140:141], s[28:29], -v[195:196]
	v_add_f64 v[54:55], v[58:59], v[54:55]
	v_add_f64 v[52:53], v[56:57], v[52:53]
	v_mul_f64 v[189:190], v[164:165], s[40:41]
	v_fma_f64 v[223:224], v[122:123], s[22:23], -v[207:208]
	v_fma_f64 v[199:200], v[136:137], s[12:13], -v[199:200]
	v_add_f64 v[203:204], v[221:222], v[203:204]
	v_add_f64 v[183:184], v[205:206], v[183:184]
	v_mul_f64 v[205:206], v[158:159], s[54:55]
	v_add_f64 v[195:196], v[38:39], v[195:196]
	v_fma_f64 v[191:192], v[132:133], s[28:29], v[191:192]
	v_mul_f64 v[170:171], v[170:171], s[20:21]
	v_mul_f64 v[56:57], v[144:145], s[20:21]
	v_add_f64 v[50:51], v[54:55], v[50:51]
	v_add_f64 v[48:49], v[52:53], v[48:49]
	v_mul_f64 v[187:188], v[162:163], s[26:27]
	v_fma_f64 v[219:220], v[134:135], s[14:15], v[189:190]
	v_add_f64 v[203:204], v[223:224], v[203:204]
	v_fma_f64 v[223:224], v[120:121], s[30:31], v[205:206]
	v_fma_f64 v[189:190], v[134:135], s[14:15], -v[189:190]
	v_add_f64 v[195:196], v[199:200], v[195:196]
	v_fma_f64 v[199:200], v[120:121], s[30:31], -v[205:206]
	v_fma_f64 v[193:194], v[128:129], s[12:13], v[193:194]
	v_add_f64 v[191:192], v[36:37], v[191:192]
	v_mul_f64 v[166:167], v[166:167], s[38:39]
	v_fma_f64 v[205:206], v[140:141], s[18:19], v[170:171]
	v_fma_f64 v[140:141], v[140:141], s[18:19], -v[170:171]
	v_mul_f64 v[138:139], v[138:139], s[38:39]
	v_fma_f64 v[52:53], v[132:133], s[18:19], v[56:57]
	v_fma_f64 v[56:57], v[132:133], s[18:19], -v[56:57]
	v_add_f64 v[46:47], v[50:51], v[46:47]
	v_add_f64 v[44:45], v[48:49], v[44:45]
	v_mul_f64 v[185:186], v[160:161], s[46:47]
	v_fma_f64 v[217:218], v[130:131], s[22:23], v[187:188]
	v_fma_f64 v[187:188], v[130:131], s[22:23], -v[187:188]
	v_add_f64 v[189:190], v[189:190], v[195:196]
	v_fma_f64 v[195:196], v[126:127], s[14:15], v[215:216]
	v_add_f64 v[191:192], v[193:194], v[191:192]
	v_mul_f64 v[164:165], v[164:165], s[44:45]
	v_fma_f64 v[193:194], v[136:137], s[28:29], v[166:167]
	v_add_f64 v[205:206], v[38:39], v[205:206]
	v_mul_f64 v[54:55], v[142:143], s[44:45]
	v_fma_f64 v[132:133], v[136:137], s[28:29], -v[166:167]
	v_add_f64 v[38:39], v[38:39], v[140:141]
	v_fma_f64 v[136:137], v[128:129], s[28:29], v[138:139]
	v_add_f64 v[48:49], v[36:37], v[52:53]
	v_fma_f64 v[50:51], v[128:129], s[28:29], -v[138:139]
	v_add_f64 v[36:37], v[36:37], v[56:57]
	v_add_f64 v[42:43], v[46:47], v[42:43]
	;; [unrolled: 1-line block ×4, first 2 shown]
	v_mul_f64 v[219:220], v[148:149], s[46:47]
	v_fma_f64 v[221:222], v[124:125], s[4:5], v[185:186]
	v_fma_f64 v[185:186], v[124:125], s[4:5], -v[185:186]
	v_add_f64 v[187:188], v[187:188], v[189:190]
	v_fma_f64 v[189:190], v[122:123], s[22:23], v[207:208]
	v_add_f64 v[76:77], v[195:196], v[191:192]
	v_mul_f64 v[78:79], v[162:163], s[16:17]
	v_mul_f64 v[146:147], v[146:147], s[16:17]
	v_fma_f64 v[52:53], v[134:135], s[10:11], -v[164:165]
	v_add_f64 v[38:39], v[132:133], v[38:39]
	v_fma_f64 v[56:57], v[126:127], s[10:11], v[54:55]
	v_add_f64 v[44:45], v[136:137], v[48:49]
	v_fma_f64 v[162:163], v[134:135], s[10:11], v[164:165]
	v_add_f64 v[191:192], v[193:194], v[205:206]
	v_fma_f64 v[46:47], v[126:127], s[10:11], -v[54:55]
	v_add_f64 v[36:37], v[50:51], v[36:37]
	v_add_f64 v[34:35], v[42:43], v[34:35]
	;; [unrolled: 1-line block ×4, first 2 shown]
	v_mul_f64 v[217:218], v[150:151], s[54:55]
	v_add_f64 v[185:186], v[185:186], v[187:188]
	v_fma_f64 v[187:188], v[118:119], s[4:5], v[219:220]
	v_add_f64 v[72:73], v[189:190], v[76:77]
	v_mul_f64 v[74:75], v[160:161], s[34:35]
	v_mul_f64 v[144:145], v[148:149], s[34:35]
	v_fma_f64 v[48:49], v[130:131], s[12:13], -v[78:79]
	v_add_f64 v[38:39], v[52:53], v[38:39]
	v_fma_f64 v[50:51], v[122:123], s[12:13], v[146:147]
	v_add_f64 v[40:41], v[56:57], v[44:45]
	v_fma_f64 v[76:77], v[130:131], s[12:13], v[78:79]
	v_add_f64 v[160:161], v[162:163], v[191:192]
	v_fma_f64 v[42:43], v[122:123], s[12:13], -v[146:147]
	v_add_f64 v[36:37], v[46:47], v[36:37]
	v_add_f64 v[30:31], v[34:35], v[30:31]
	;; [unrolled: 1-line block ×4, first 2 shown]
	v_fma_f64 v[185:186], v[114:115], s[30:31], v[217:218]
	v_add_f64 v[68:69], v[187:188], v[72:73]
	v_mul_f64 v[70:71], v[158:159], s[40:41]
	v_mul_f64 v[58:59], v[150:151], s[40:41]
	v_fma_f64 v[44:45], v[124:125], s[30:31], -v[74:75]
	v_add_f64 v[38:39], v[48:49], v[38:39]
	v_fma_f64 v[46:47], v[118:119], s[30:31], v[144:145]
	v_add_f64 v[32:33], v[50:51], v[40:41]
	v_fma_f64 v[209:210], v[114:115], s[18:19], v[209:210]
	v_fma_f64 v[225:226], v[118:119], s[4:5], -v[219:220]
	v_add_f64 v[201:202], v[221:222], v[201:202]
	v_mul_f64 v[221:222], v[152:153], s[24:25]
	v_fma_f64 v[72:73], v[124:125], s[30:31], v[74:75]
	v_add_f64 v[76:77], v[76:77], v[160:161]
	v_fma_f64 v[34:35], v[118:119], s[30:31], -v[144:145]
	v_add_f64 v[36:37], v[42:43], v[36:37]
	v_add_f64 v[26:27], v[30:31], v[26:27]
	;; [unrolled: 1-line block ×4, first 2 shown]
	v_mul_f64 v[68:69], v[156:157], s[6:7]
	v_mul_f64 v[152:153], v[152:153], s[6:7]
	v_fma_f64 v[40:41], v[120:121], s[14:15], -v[70:71]
	v_add_f64 v[38:39], v[44:45], v[38:39]
	v_fma_f64 v[42:43], v[114:115], s[14:15], v[58:59]
	v_add_f64 v[28:29], v[46:47], v[32:33]
	v_fma_f64 v[213:214], v[112:113], s[12:13], v[213:214]
	v_add_f64 v[183:184], v[209:210], v[183:184]
	v_mul_f64 v[209:210], v[156:157], s[24:25]
	v_fma_f64 v[227:228], v[114:115], s[30:31], -v[217:218]
	v_add_f64 v[203:204], v[225:226], v[203:204]
	v_fma_f64 v[160:161], v[112:113], s[10:11], v[221:222]
	v_fma_f64 v[156:157], v[120:121], s[14:15], v[70:71]
	v_add_f64 v[72:73], v[72:73], v[76:77]
	v_fma_f64 v[30:31], v[114:115], s[14:15], -v[58:59]
	v_add_f64 v[32:33], v[34:35], v[36:37]
	v_add_f64 v[22:23], v[26:27], v[22:23]
	;; [unrolled: 1-line block ×4, first 2 shown]
	v_mul_f64 v[223:224], v[154:155], s[36:37]
	v_mul_f64 v[64:65], v[168:169], s[26:27]
	;; [unrolled: 1-line block ×3, first 2 shown]
	v_fma_f64 v[34:35], v[116:117], s[4:5], -v[68:69]
	v_add_f64 v[36:37], v[40:41], v[38:39]
	v_fma_f64 v[38:39], v[112:113], s[4:5], v[152:153]
	v_add_f64 v[24:25], v[42:43], v[28:29]
	v_fma_f64 v[211:212], v[108:109], s[4:5], v[211:212]
	v_add_f64 v[213:214], v[213:214], v[183:184]
	v_mul_f64 v[225:226], v[168:169], s[36:37]
	v_fma_f64 v[229:230], v[116:117], s[10:11], v[209:210]
	v_fma_f64 v[209:210], v[116:117], s[10:11], -v[209:210]
	v_fma_f64 v[231:232], v[112:113], s[10:11], -v[221:222]
	v_add_f64 v[203:204], v[227:228], v[203:204]
	v_add_f64 v[62:63], v[160:161], v[66:67]
	v_fma_f64 v[66:67], v[116:117], s[4:5], v[68:69]
	v_add_f64 v[72:73], v[156:157], v[72:73]
	v_fma_f64 v[26:27], v[112:113], s[4:5], -v[152:153]
	v_add_f64 v[28:29], v[30:31], v[32:33]
	v_add_f64 v[18:19], v[22:23], v[18:19]
	;; [unrolled: 1-line block ×3, first 2 shown]
	v_fma_f64 v[30:31], v[110:111], s[22:23], -v[64:65]
	v_add_f64 v[32:33], v[34:35], v[36:37]
	v_fma_f64 v[34:35], v[108:109], s[22:23], v[154:155]
	v_add_f64 v[24:25], v[38:39], v[24:25]
	v_add_f64 v[183:184], v[197:198], v[181:182]
	;; [unrolled: 1-line block ×3, first 2 shown]
	v_fma_f64 v[213:214], v[110:111], s[18:19], -v[225:226]
	v_add_f64 v[158:159], v[209:210], v[162:163]
	v_fma_f64 v[76:77], v[108:109], s[18:19], v[223:224]
	v_fma_f64 v[197:198], v[110:111], s[18:19], v[225:226]
	v_add_f64 v[201:202], v[229:230], v[201:202]
	v_fma_f64 v[211:212], v[108:109], s[18:19], -v[223:224]
	v_add_f64 v[203:204], v[231:232], v[203:204]
	v_fma_f64 v[36:37], v[110:111], s[22:23], v[64:65]
	v_add_f64 v[38:39], v[66:67], v[72:73]
	v_fma_f64 v[40:41], v[108:109], s[22:23], -v[154:155]
	v_add_f64 v[26:27], v[26:27], v[28:29]
	v_add_f64 v[20:21], v[18:19], v[14:15]
	;; [unrolled: 1-line block ×7, first 2 shown]
	v_lshl_add_u32 v12, v104, 8, v180
	v_add_f64 v[24:25], v[197:198], v[201:202]
	v_add_f64 v[22:23], v[211:212], v[203:204]
	;; [unrolled: 1-line block ×4, first 2 shown]
	ds_write_b128 v12, v[18:21]
	ds_write_b128 v12, v[14:17] offset:16
	ds_write_b128 v12, v[58:61] offset:32
	;; [unrolled: 1-line block ×16, first 2 shown]
.LBB0_19:
	s_or_b64 exec, exec, s[42:43]
	s_movk_i32 s4, 0xf1
	v_mul_lo_u16_sdwa v12, v104, s4 dst_sel:DWORD dst_unused:UNUSED_PAD src0_sel:BYTE_0 src1_sel:DWORD
	v_lshrrev_b16_e32 v72, 12, v12
	v_mul_lo_u16_e32 v12, 17, v72
	v_sub_u16_e32 v73, v104, v12
	v_mov_b32_e32 v12, 7
	v_mul_u32_u24_sdwa v12, v73, v12 dst_sel:DWORD dst_unused:UNUSED_PAD src0_sel:BYTE_0 src1_sel:DWORD
	v_lshlrev_b32_e32 v40, 4, v12
	s_waitcnt lgkmcnt(0)
	s_barrier
	global_load_dwordx4 v[12:15], v40, s[8:9]
	global_load_dwordx4 v[16:19], v40, s[8:9] offset:16
	global_load_dwordx4 v[20:23], v40, s[8:9] offset:32
	global_load_dwordx4 v[24:27], v40, s[8:9] offset:48
	global_load_dwordx4 v[28:31], v40, s[8:9] offset:64
	global_load_dwordx4 v[32:35], v40, s[8:9] offset:80
	global_load_dwordx4 v[36:39], v40, s[8:9] offset:96
	ds_read_b128 v[40:43], v180
	ds_read_b128 v[44:47], v180 offset:2992
	ds_read_b128 v[48:51], v180 offset:5984
	;; [unrolled: 1-line block ×7, first 2 shown]
	v_mov_b32_e32 v74, 4
	v_mul_u32_u24_e32 v72, 0x880, v72
	v_lshlrev_b32_sdwa v73, v74, v73 dst_sel:DWORD dst_unused:UNUSED_PAD src0_sel:DWORD src1_sel:BYTE_0
	v_add3_u32 v86, 0, v72, v73
	s_mov_b32 s4, 0x667f3bcd
	s_mov_b32 s5, 0xbfe6a09e
	;; [unrolled: 1-line block ×4, first 2 shown]
	s_movk_i32 s10, 0x88
	v_cmp_gt_u32_e32 vcc, s10, v104
	s_waitcnt vmcnt(0) lgkmcnt(0)
	s_barrier
	v_mul_f64 v[72:73], v[46:47], v[14:15]
	v_mul_f64 v[14:15], v[44:45], v[14:15]
	;; [unrolled: 1-line block ×14, first 2 shown]
	v_fma_f64 v[44:45], v[44:45], v[12:13], v[72:73]
	v_fma_f64 v[12:13], v[46:47], v[12:13], -v[14:15]
	v_fma_f64 v[14:15], v[48:49], v[16:17], v[74:75]
	v_fma_f64 v[16:17], v[50:51], v[16:17], -v[18:19]
	;; [unrolled: 2-line block ×7, first 2 shown]
	v_add_f64 v[22:23], v[40:41], -v[22:23]
	v_add_f64 v[24:25], v[42:43], -v[24:25]
	;; [unrolled: 1-line block ×8, first 2 shown]
	v_fma_f64 v[38:39], v[40:41], 2.0, -v[22:23]
	v_fma_f64 v[40:41], v[42:43], 2.0, -v[24:25]
	;; [unrolled: 1-line block ×6, first 2 shown]
	v_add_f64 v[44:45], v[22:23], v[32:33]
	v_add_f64 v[26:27], v[24:25], -v[26:27]
	v_fma_f64 v[18:19], v[18:19], 2.0, -v[30:31]
	v_fma_f64 v[20:21], v[20:21], 2.0, -v[36:37]
	v_add_f64 v[32:33], v[34:35], v[36:37]
	v_add_f64 v[30:31], v[28:29], -v[30:31]
	v_add_f64 v[14:15], v[38:39], -v[14:15]
	;; [unrolled: 1-line block ×3, first 2 shown]
	v_fma_f64 v[46:47], v[22:23], 2.0, -v[44:45]
	v_fma_f64 v[48:49], v[24:25], 2.0, -v[26:27]
	v_add_f64 v[18:19], v[42:43], -v[18:19]
	v_add_f64 v[20:21], v[12:13], -v[20:21]
	v_fma_f64 v[22:23], v[34:35], 2.0, -v[32:33]
	v_fma_f64 v[24:25], v[28:29], 2.0, -v[30:31]
	v_fma_f64 v[28:29], v[32:33], s[6:7], v[44:45]
	v_fma_f64 v[34:35], v[30:31], s[6:7], v[26:27]
	v_fma_f64 v[50:51], v[38:39], 2.0, -v[14:15]
	v_fma_f64 v[52:53], v[40:41], 2.0, -v[16:17]
	;; [unrolled: 1-line block ×4, first 2 shown]
	v_fma_f64 v[56:57], v[22:23], s[4:5], v[46:47]
	v_fma_f64 v[58:59], v[24:25], s[4:5], v[48:49]
	v_add_f64 v[36:37], v[14:15], v[20:21]
	v_add_f64 v[38:39], v[16:17], -v[18:19]
	v_fma_f64 v[40:41], v[30:31], s[6:7], v[28:29]
	v_fma_f64 v[42:43], v[32:33], s[4:5], v[34:35]
	v_add_f64 v[28:29], v[50:51], -v[54:55]
	v_add_f64 v[30:31], v[52:53], -v[12:13]
	v_fma_f64 v[32:33], v[24:25], s[6:7], v[56:57]
	v_fma_f64 v[34:35], v[22:23], s[4:5], v[58:59]
	v_fma_f64 v[20:21], v[14:15], 2.0, -v[36:37]
	v_fma_f64 v[22:23], v[16:17], 2.0, -v[38:39]
	;; [unrolled: 1-line block ×8, first 2 shown]
	ds_write_b128 v86, v[36:39] offset:1632
	ds_write_b128 v86, v[40:43] offset:1904
	;; [unrolled: 1-line block ×6, first 2 shown]
	ds_write_b128 v86, v[12:15]
	ds_write_b128 v86, v[16:19] offset:272
	s_waitcnt lgkmcnt(0)
	s_barrier
	s_and_saveexec_b64 s[4:5], vcc
	s_cbranch_execz .LBB0_21
; %bb.20:
	ds_read_b128 v[12:15], v180
	ds_read_b128 v[16:19], v180 offset:2176
	ds_read_b128 v[20:23], v180 offset:4352
	;; [unrolled: 1-line block ×10, first 2 shown]
.LBB0_21:
	s_or_b64 exec, exec, s[4:5]
	s_waitcnt lgkmcnt(0)
	s_barrier
	s_and_saveexec_b64 s[4:5], vcc
	s_cbranch_execz .LBB0_23
; %bb.22:
	v_add_u32_e32 v44, 0xffffff78, v104
	v_cndmask_b32_e32 v44, v44, v104, vcc
	v_mul_i32_i24_e32 v44, 10, v44
	v_mov_b32_e32 v45, 0
	v_lshlrev_b64 v[44:45], 4, v[44:45]
	v_mov_b32_e32 v46, s9
	v_add_co_u32_e32 v84, vcc, s8, v44
	v_addc_co_u32_e32 v85, vcc, v46, v45, vcc
	global_load_dwordx4 v[44:47], v[84:85], off offset:1968
	global_load_dwordx4 v[48:51], v[84:85], off offset:1984
	;; [unrolled: 1-line block ×10, first 2 shown]
	s_mov_b32 s22, 0xfd768dbf
	s_mov_b32 s23, 0xbfd207e7
	s_mov_b32 s26, 0xf8bb580b
	s_mov_b32 s18, 0x9bcd5057
	s_mov_b32 s27, 0x3fe14ced
	s_mov_b32 s19, 0xbfeeb42a
	s_mov_b32 s8, 0x43842ef
	s_mov_b32 s16, 0xbb3a28a1
	s_mov_b32 s20, 0x8764f0ba
	s_mov_b32 s9, 0xbfefac9e
	s_mov_b32 s13, 0x3fed1bb4
	s_mov_b32 s12, 0x8eee2c13
	s_mov_b32 s17, 0xbfe82f19
	s_mov_b32 s21, 0x3feaeb8c
	s_mov_b32 s6, 0x640f44db
	s_mov_b32 s10, 0xd9c712b6
	s_mov_b32 s14, 0x7f775887
	s_mov_b32 s7, 0xbfc2375f
	s_mov_b32 s11, 0x3fda9628
	s_mov_b32 s15, 0xbfe4f49e
	s_mov_b32 s29, 0x3fefac9e
	s_mov_b32 s28, s8
	s_mov_b32 s25, 0xbfe14ced
	s_mov_b32 s24, s26
	s_mov_b32 s31, 0x3fd207e7
	s_mov_b32 s30, s22
	s_waitcnt vmcnt(9)
	v_mul_f64 v[84:85], v[34:35], v[46:47]
	s_waitcnt vmcnt(8)
	v_mul_f64 v[86:87], v[38:39], v[50:51]
	v_mul_f64 v[46:47], v[32:33], v[46:47]
	v_mul_f64 v[50:51], v[36:37], v[50:51]
	s_waitcnt vmcnt(6)
	v_mul_f64 v[90:91], v[42:43], v[58:59]
	v_mul_f64 v[58:59], v[40:41], v[58:59]
	s_waitcnt vmcnt(5)
	v_mul_f64 v[92:93], v[26:27], v[62:63]
	s_waitcnt vmcnt(4)
	v_mul_f64 v[94:95], v[2:3], v[66:67]
	v_mul_f64 v[62:63], v[24:25], v[62:63]
	;; [unrolled: 1-line block ×3, first 2 shown]
	s_waitcnt vmcnt(1)
	v_mul_f64 v[100:101], v[18:19], v[78:79]
	s_waitcnt vmcnt(0)
	v_mul_f64 v[102:103], v[10:11], v[82:83]
	v_mul_f64 v[78:79], v[16:17], v[78:79]
	;; [unrolled: 1-line block ×9, first 2 shown]
	v_fma_f64 v[36:37], v[36:37], v[48:49], v[86:87]
	v_fma_f64 v[34:35], v[34:35], v[44:45], -v[46:47]
	v_fma_f64 v[38:39], v[38:39], v[48:49], -v[50:51]
	;; [unrolled: 1-line block ×3, first 2 shown]
	v_fma_f64 v[24:25], v[24:25], v[60:61], v[92:93]
	v_fma_f64 v[46:47], v[0:1], v[64:65], v[94:95]
	v_fma_f64 v[48:49], v[26:27], v[60:61], -v[62:63]
	v_fma_f64 v[50:51], v[2:3], v[64:65], -v[66:67]
	v_fma_f64 v[58:59], v[16:17], v[76:77], v[100:101]
	v_fma_f64 v[60:61], v[8:9], v[80:81], v[102:103]
	v_fma_f64 v[62:63], v[18:19], v[76:77], -v[78:79]
	v_fma_f64 v[64:65], v[10:11], v[80:81], -v[82:83]
	v_fma_f64 v[32:33], v[32:33], v[44:45], v[84:85]
	v_fma_f64 v[28:29], v[28:29], v[52:53], v[88:89]
	;; [unrolled: 1-line block ×3, first 2 shown]
	v_fma_f64 v[44:45], v[30:31], v[52:53], -v[54:55]
	v_fma_f64 v[30:31], v[20:21], v[68:69], v[96:97]
	v_fma_f64 v[52:53], v[4:5], v[72:73], v[98:99]
	v_fma_f64 v[54:55], v[22:23], v[68:69], -v[70:71]
	v_fma_f64 v[56:57], v[6:7], v[72:73], -v[74:75]
	v_add_f64 v[82:83], v[58:59], -v[60:61]
	v_add_f64 v[102:103], v[62:63], -v[64:65]
	v_add_f64 v[84:85], v[62:63], v[64:65]
	v_add_f64 v[108:109], v[58:59], v[60:61]
	v_add_f64 v[66:67], v[32:33], -v[36:37]
	v_add_f64 v[78:79], v[30:31], -v[52:53]
	;; [unrolled: 1-line block ×4, first 2 shown]
	v_mul_f64 v[8:9], v[82:83], s[22:23]
	v_mul_f64 v[16:17], v[102:103], s[22:23]
	v_add_f64 v[74:75], v[24:25], -v[46:47]
	v_add_f64 v[80:81], v[54:55], v[56:57]
	v_add_f64 v[96:97], v[48:49], -v[50:51]
	v_add_f64 v[98:99], v[30:31], v[52:53]
	v_mul_f64 v[6:7], v[78:79], s[26:27]
	v_mul_f64 v[22:23], v[100:101], s[26:27]
	v_fma_f64 v[114:115], v[84:85], s[18:19], v[8:9]
	v_fma_f64 v[116:117], v[108:109], s[18:19], -v[16:17]
	v_add_f64 v[68:69], v[34:35], v[38:39]
	v_add_f64 v[72:73], v[44:45], v[42:43]
	;; [unrolled: 1-line block ×3, first 2 shown]
	v_add_f64 v[92:93], v[44:45], -v[42:43]
	v_add_f64 v[94:95], v[24:25], v[46:47]
	v_mul_f64 v[0:1], v[66:67], s[8:9]
	v_mul_f64 v[2:3], v[70:71], s[12:13]
	;; [unrolled: 1-line block ×4, first 2 shown]
	v_fma_f64 v[124:125], v[80:81], s[20:21], v[6:7]
	v_fma_f64 v[126:127], v[98:99], s[20:21], -v[22:23]
	v_fma_f64 v[8:9], v[84:85], s[18:19], -v[8:9]
	v_add_f64 v[114:115], v[14:15], v[114:115]
	v_add_f64 v[116:117], v[12:13], v[116:117]
	v_add_f64 v[88:89], v[34:35], -v[38:39]
	v_add_f64 v[90:91], v[28:29], v[40:41]
	v_mul_f64 v[18:19], v[92:93], s[12:13]
	v_mul_f64 v[112:113], v[82:83], s[16:17]
	v_fma_f64 v[122:123], v[68:69], s[6:7], v[0:1]
	v_fma_f64 v[128:129], v[72:73], s[10:11], v[2:3]
	;; [unrolled: 1-line block ×3, first 2 shown]
	v_fma_f64 v[134:135], v[94:95], s[14:15], -v[20:21]
	v_fma_f64 v[6:7], v[80:81], s[20:21], -v[6:7]
	v_add_f64 v[8:9], v[14:15], v[8:9]
	v_add_f64 v[114:115], v[124:125], v[114:115]
	;; [unrolled: 1-line block ×3, first 2 shown]
	v_fma_f64 v[126:127], v[68:69], s[6:7], -v[0:1]
	v_fma_f64 v[0:1], v[72:73], s[10:11], -v[2:3]
	v_fma_f64 v[2:3], v[108:109], s[18:19], v[16:17]
	v_add_f64 v[86:87], v[32:33], v[36:37]
	v_mul_f64 v[10:11], v[88:89], s[8:9]
	v_mul_f64 v[110:111], v[78:79], s[28:29]
	;; [unrolled: 1-line block ×3, first 2 shown]
	v_fma_f64 v[124:125], v[90:91], s[10:11], -v[18:19]
	v_fma_f64 v[4:5], v[76:77], s[14:15], -v[4:5]
	v_add_f64 v[6:7], v[6:7], v[8:9]
	v_add_f64 v[8:9], v[130:131], v[114:115]
	;; [unrolled: 1-line block ×3, first 2 shown]
	v_fma_f64 v[22:23], v[98:99], s[20:21], v[22:23]
	v_add_f64 v[2:3], v[12:13], v[2:3]
	v_fma_f64 v[114:115], v[84:85], s[14:15], v[112:113]
	v_mul_f64 v[26:27], v[74:75], s[24:25]
	v_mul_f64 v[118:119], v[100:101], s[28:29]
	v_fma_f64 v[132:133], v[86:87], s[6:7], -v[10:11]
	v_add_f64 v[4:5], v[4:5], v[6:7]
	v_add_f64 v[6:7], v[128:129], v[8:9]
	;; [unrolled: 1-line block ×3, first 2 shown]
	v_fma_f64 v[16:17], v[94:95], s[14:15], v[20:21]
	v_fma_f64 v[20:21], v[80:81], s[6:7], v[110:111]
	v_fma_f64 v[116:117], v[108:109], s[14:15], -v[120:121]
	v_add_f64 v[22:23], v[22:23], v[2:3]
	v_add_f64 v[114:115], v[14:15], v[114:115]
	;; [unrolled: 1-line block ×5, first 2 shown]
	v_mul_f64 v[122:123], v[96:97], s[24:25]
	v_fma_f64 v[6:7], v[98:99], s[6:7], -v[118:119]
	v_add_f64 v[8:9], v[12:13], v[116:117]
	v_add_f64 v[16:17], v[16:17], v[22:23]
	v_mul_f64 v[22:23], v[70:71], s[22:23]
	v_fma_f64 v[112:113], v[84:85], s[14:15], -v[112:113]
	v_fma_f64 v[116:117], v[76:77], s[20:21], v[26:27]
	v_add_f64 v[20:21], v[20:21], v[114:115]
	v_fma_f64 v[18:19], v[90:91], s[10:11], v[18:19]
	v_mul_f64 v[114:115], v[92:93], s[22:23]
	v_fma_f64 v[124:125], v[94:95], s[20:21], -v[122:123]
	v_add_f64 v[6:7], v[6:7], v[8:9]
	v_mul_f64 v[128:129], v[66:67], s[12:13]
	v_fma_f64 v[8:9], v[80:81], s[6:7], -v[110:111]
	v_add_f64 v[110:111], v[14:15], v[112:113]
	v_fma_f64 v[112:113], v[72:73], s[18:19], v[22:23]
	v_add_f64 v[20:21], v[116:117], v[20:21]
	v_fma_f64 v[10:11], v[86:87], s[6:7], v[10:11]
	v_mul_f64 v[116:117], v[88:89], s[12:13]
	v_fma_f64 v[130:131], v[90:91], s[18:19], -v[114:115]
	v_add_f64 v[6:7], v[124:125], v[6:7]
	v_add_f64 v[16:17], v[18:19], v[16:17]
	v_fma_f64 v[18:19], v[76:77], s[20:21], -v[26:27]
	v_add_f64 v[8:9], v[8:9], v[110:111]
	v_fma_f64 v[26:27], v[68:69], s[10:11], v[128:129]
	v_add_f64 v[20:21], v[112:113], v[20:21]
	v_fma_f64 v[110:111], v[108:109], s[14:15], v[120:121]
	v_fma_f64 v[112:113], v[86:87], s[10:11], -v[116:117]
	v_add_f64 v[120:121], v[130:131], v[6:7]
	v_add_f64 v[6:7], v[126:127], v[4:5]
	v_fma_f64 v[22:23], v[72:73], s[18:19], -v[22:23]
	v_add_f64 v[18:19], v[18:19], v[8:9]
	v_add_f64 v[4:5], v[10:11], v[16:17]
	v_fma_f64 v[16:17], v[98:99], s[6:7], v[118:119]
	v_add_f64 v[110:111], v[12:13], v[110:111]
	v_add_f64 v[10:11], v[26:27], v[20:21]
	v_mul_f64 v[26:27], v[82:83], s[8:9]
	v_add_f64 v[8:9], v[112:113], v[120:121]
	v_mul_f64 v[112:113], v[102:103], s[8:9]
	v_add_f64 v[18:19], v[22:23], v[18:19]
	v_fma_f64 v[22:23], v[94:95], s[20:21], v[122:123]
	v_mul_f64 v[120:121], v[100:101], s[30:31]
	v_add_f64 v[16:17], v[16:17], v[110:111]
	v_mul_f64 v[110:111], v[78:79], s[30:31]
	v_fma_f64 v[118:119], v[84:85], s[6:7], v[26:27]
	v_fma_f64 v[20:21], v[68:69], s[10:11], -v[128:129]
	v_fma_f64 v[122:123], v[108:109], s[6:7], -v[112:113]
	v_mul_f64 v[126:127], v[96:97], s[12:13]
	v_mul_f64 v[130:131], v[70:71], s[24:25]
	v_fma_f64 v[128:129], v[98:99], s[18:19], -v[120:121]
	v_add_f64 v[16:17], v[22:23], v[16:17]
	v_fma_f64 v[22:23], v[84:85], s[6:7], -v[26:27]
	v_mul_f64 v[26:27], v[74:75], s[12:13]
	v_fma_f64 v[124:125], v[80:81], s[18:19], v[110:111]
	v_add_f64 v[118:119], v[14:15], v[118:119]
	v_add_f64 v[122:123], v[12:13], v[122:123]
	v_fma_f64 v[110:111], v[80:81], s[18:19], -v[110:111]
	v_fma_f64 v[114:115], v[90:91], s[18:19], v[114:115]
	v_fma_f64 v[134:135], v[94:95], s[10:11], -v[126:127]
	v_add_f64 v[22:23], v[14:15], v[22:23]
	v_fma_f64 v[132:133], v[76:77], s[10:11], v[26:27]
	v_fma_f64 v[26:27], v[76:77], s[10:11], -v[26:27]
	v_add_f64 v[118:119], v[124:125], v[118:119]
	v_mul_f64 v[124:125], v[92:93], s[24:25]
	v_add_f64 v[122:123], v[128:129], v[122:123]
	v_fma_f64 v[128:129], v[72:73], s[20:21], v[130:131]
	v_fma_f64 v[130:131], v[72:73], s[20:21], -v[130:131]
	v_add_f64 v[22:23], v[110:111], v[22:23]
	v_mul_f64 v[110:111], v[66:67], s[16:17]
	v_add_f64 v[16:17], v[114:115], v[16:17]
	v_add_f64 v[118:119], v[132:133], v[118:119]
	v_mul_f64 v[132:133], v[88:89], s[16:17]
	v_fma_f64 v[136:137], v[90:91], s[20:21], -v[124:125]
	v_add_f64 v[122:123], v[134:135], v[122:123]
	v_fma_f64 v[112:113], v[108:109], s[6:7], v[112:113]
	v_add_f64 v[22:23], v[26:27], v[22:23]
	v_fma_f64 v[26:27], v[86:87], s[10:11], v[116:117]
	v_fma_f64 v[114:115], v[68:69], s[14:15], v[110:111]
	v_add_f64 v[116:117], v[128:129], v[118:119]
	v_fma_f64 v[118:119], v[86:87], s[14:15], -v[132:133]
	v_fma_f64 v[110:111], v[68:69], s[14:15], -v[110:111]
	v_add_f64 v[122:123], v[136:137], v[122:123]
	v_add_f64 v[112:113], v[12:13], v[112:113]
	;; [unrolled: 1-line block ×3, first 2 shown]
	s_mov_b32 s13, 0xbfed1bb4
	v_add_f64 v[18:19], v[20:21], v[18:19]
	v_add_f64 v[22:23], v[114:115], v[116:117]
	v_fma_f64 v[114:115], v[98:99], s[18:19], v[120:121]
	v_add_f64 v[16:17], v[26:27], v[16:17]
	v_mul_f64 v[130:131], v[82:83], s[12:13]
	v_add_f64 v[20:21], v[118:119], v[122:123]
	v_add_f64 v[26:27], v[110:111], v[128:129]
	v_mul_f64 v[110:111], v[102:103], s[12:13]
	v_fma_f64 v[122:123], v[94:95], s[10:11], v[126:127]
	v_add_f64 v[62:63], v[14:15], v[62:63]
	v_add_f64 v[112:113], v[114:115], v[112:113]
	;; [unrolled: 1-line block ×3, first 2 shown]
	v_mul_f64 v[116:117], v[78:79], s[16:17]
	v_mul_f64 v[126:127], v[100:101], s[16:17]
	v_fma_f64 v[120:121], v[86:87], s[14:15], v[132:133]
	v_fma_f64 v[128:129], v[108:109], s[10:11], -v[110:111]
	v_mul_f64 v[132:133], v[74:75], s[30:31]
	v_add_f64 v[54:55], v[62:63], v[54:55]
	v_add_f64 v[112:113], v[122:123], v[112:113]
	v_fma_f64 v[122:123], v[84:85], s[10:11], -v[130:131]
	v_add_f64 v[58:59], v[58:59], v[30:31]
	v_fma_f64 v[134:135], v[80:81], s[14:15], v[116:117]
	v_fma_f64 v[136:137], v[98:99], s[14:15], -v[126:127]
	v_add_f64 v[128:129], v[12:13], v[128:129]
	v_fma_f64 v[116:117], v[80:81], s[14:15], -v[116:117]
	v_add_f64 v[48:49], v[54:55], v[48:49]
	v_fma_f64 v[114:115], v[90:91], s[20:21], v[124:125]
	v_add_f64 v[122:123], v[14:15], v[122:123]
	v_add_f64 v[24:25], v[58:59], v[24:25]
	v_fma_f64 v[140:141], v[76:77], s[18:19], v[132:133]
	v_fma_f64 v[132:133], v[76:77], s[18:19], -v[132:133]
	v_add_f64 v[128:129], v[136:137], v[128:129]
	v_mul_f64 v[136:137], v[66:67], s[26:27]
	v_fma_f64 v[110:111], v[108:109], s[10:11], v[110:111]
	v_mul_f64 v[82:83], v[82:83], s[24:25]
	v_add_f64 v[116:117], v[116:117], v[122:123]
	v_fma_f64 v[118:119], v[84:85], s[10:11], v[130:131]
	v_add_f64 v[44:45], v[48:49], v[44:45]
	v_add_f64 v[24:25], v[24:25], v[28:29]
	;; [unrolled: 1-line block ×3, first 2 shown]
	v_fma_f64 v[114:115], v[68:69], s[20:21], v[136:137]
	v_fma_f64 v[126:127], v[98:99], s[14:15], v[126:127]
	v_add_f64 v[110:111], v[12:13], v[110:111]
	v_add_f64 v[116:117], v[132:133], v[116:117]
	v_fma_f64 v[132:133], v[68:69], s[20:21], -v[136:137]
	v_mul_f64 v[78:79], v[78:79], s[12:13]
	v_fma_f64 v[136:137], v[84:85], s[20:21], v[82:83]
	v_mul_f64 v[28:29], v[102:103], s[24:25]
	v_add_f64 v[118:119], v[14:15], v[118:119]
	v_mul_f64 v[124:125], v[96:97], s[30:31]
	v_add_f64 v[34:35], v[44:45], v[34:35]
	v_add_f64 v[24:25], v[24:25], v[32:33]
	;; [unrolled: 1-line block ×3, first 2 shown]
	v_mul_f64 v[74:75], v[74:75], s[8:9]
	v_fma_f64 v[62:63], v[80:81], s[10:11], v[78:79]
	v_add_f64 v[126:127], v[14:15], v[136:137]
	v_fma_f64 v[82:83], v[84:85], s[20:21], -v[82:83]
	v_mul_f64 v[84:85], v[100:101], s[12:13]
	v_fma_f64 v[32:33], v[108:109], s[20:21], v[28:29]
	v_mul_f64 v[138:139], v[70:71], s[28:29]
	v_add_f64 v[118:119], v[134:135], v[118:119]
	v_fma_f64 v[134:135], v[94:95], s[18:19], -v[124:125]
	v_fma_f64 v[28:29], v[108:109], s[20:21], -v[28:29]
	v_add_f64 v[34:35], v[34:35], v[38:39]
	v_add_f64 v[24:25], v[24:25], v[36:37]
	v_fma_f64 v[54:55], v[76:77], s[6:7], v[74:75]
	v_add_f64 v[58:59], v[62:63], v[126:127]
	v_mul_f64 v[44:45], v[96:97], s[8:9]
	v_fma_f64 v[78:79], v[80:81], s[10:11], -v[78:79]
	v_add_f64 v[14:15], v[14:15], v[82:83]
	v_fma_f64 v[80:81], v[98:99], s[10:11], v[84:85]
	v_add_f64 v[32:33], v[12:13], v[32:33]
	v_add_f64 v[128:129], v[134:135], v[128:129]
	v_fma_f64 v[134:135], v[72:73], s[6:7], -v[138:139]
	v_fma_f64 v[36:37], v[98:99], s[10:11], -v[84:85]
	v_add_f64 v[12:13], v[12:13], v[28:29]
	v_add_f64 v[34:35], v[34:35], v[42:43]
	;; [unrolled: 1-line block ×3, first 2 shown]
	v_mul_f64 v[70:71], v[70:71], s[16:17]
	v_add_f64 v[48:49], v[54:55], v[58:59]
	v_mul_f64 v[58:59], v[92:93], s[16:17]
	v_fma_f64 v[28:29], v[76:77], s[6:7], -v[74:75]
	v_add_f64 v[14:15], v[78:79], v[14:15]
	v_fma_f64 v[38:39], v[94:95], s[6:7], v[44:45]
	v_add_f64 v[32:33], v[80:81], v[32:33]
	v_mul_f64 v[130:131], v[92:93], s[28:29]
	v_fma_f64 v[124:125], v[94:95], s[18:19], v[124:125]
	v_add_f64 v[116:117], v[134:135], v[116:117]
	v_fma_f64 v[40:41], v[94:95], s[6:7], -v[44:45]
	v_add_f64 v[12:13], v[36:37], v[12:13]
	v_add_f64 v[34:35], v[34:35], v[50:51]
	;; [unrolled: 1-line block ×3, first 2 shown]
	v_mul_f64 v[66:67], v[66:67], s[22:23]
	v_mul_f64 v[54:55], v[88:89], s[22:23]
	v_fma_f64 v[36:37], v[72:73], s[14:15], -v[70:71]
	v_add_f64 v[14:15], v[28:29], v[14:15]
	v_fma_f64 v[28:29], v[90:91], s[14:15], v[58:59]
	v_add_f64 v[32:33], v[38:39], v[32:33]
	v_add_f64 v[118:119], v[140:141], v[118:119]
	v_mul_f64 v[140:141], v[88:89], s[26:27]
	v_fma_f64 v[144:145], v[90:91], s[6:7], -v[130:131]
	v_fma_f64 v[130:131], v[90:91], s[6:7], v[130:131]
	v_add_f64 v[110:111], v[124:125], v[110:111]
	v_fma_f64 v[142:143], v[72:73], s[6:7], v[138:139]
	v_add_f64 v[30:31], v[132:133], v[116:117]
	v_fma_f64 v[116:117], v[72:73], s[14:15], v[70:71]
	v_fma_f64 v[38:39], v[90:91], s[14:15], -v[58:59]
	v_add_f64 v[12:13], v[40:41], v[12:13]
	v_add_f64 v[34:35], v[34:35], v[56:57]
	;; [unrolled: 1-line block ×3, first 2 shown]
	v_fma_f64 v[40:41], v[68:69], s[18:19], -v[66:67]
	v_add_f64 v[14:15], v[36:37], v[14:15]
	v_fma_f64 v[36:37], v[86:87], s[18:19], v[54:55]
	v_add_f64 v[28:29], v[28:29], v[32:33]
	v_fma_f64 v[62:63], v[86:87], s[20:21], v[140:141]
	v_add_f64 v[110:111], v[130:131], v[110:111]
	v_add_f64 v[118:119], v[142:143], v[118:119]
	v_fma_f64 v[122:123], v[86:87], s[20:21], -v[140:141]
	v_add_f64 v[128:129], v[144:145], v[128:129]
	v_fma_f64 v[42:43], v[68:69], s[18:19], v[66:67]
	v_add_f64 v[44:45], v[116:117], v[48:49]
	v_fma_f64 v[46:47], v[86:87], s[18:19], -v[54:55]
	v_add_f64 v[48:49], v[38:39], v[12:13]
	v_add_f64 v[34:35], v[34:35], v[64:65]
	;; [unrolled: 1-line block ×11, first 2 shown]
	ds_write_b128 v180, v[32:35]
	ds_write_b128 v180, v[12:15] offset:2176
	ds_write_b128 v180, v[28:31] offset:4352
	;; [unrolled: 1-line block ×10, first 2 shown]
.LBB0_23:
	s_or_b64 exec, exec, s[4:5]
	s_waitcnt lgkmcnt(0)
	s_barrier
	s_and_saveexec_b64 s[4:5], s[0:1]
	s_cbranch_execz .LBB0_25
; %bb.24:
	v_lshl_add_u32 v10, v104, 4, 0
	v_mov_b32_e32 v105, 0
	ds_read_b128 v[0:3], v10
	v_mov_b32_e32 v4, s3
	v_add_co_u32_e32 v11, vcc, s2, v106
	v_addc_co_u32_e32 v12, vcc, v4, v107, vcc
	v_lshlrev_b64 v[4:5], 4, v[104:105]
	v_add_co_u32_e32 v8, vcc, v11, v4
	v_addc_co_u32_e32 v9, vcc, v12, v5, vcc
	ds_read_b128 v[4:7], v10 offset:2992
	s_waitcnt lgkmcnt(1)
	global_store_dwordx4 v[8:9], v[0:3], off
	s_nop 0
	v_add_u32_e32 v0, 0xbb, v104
	v_mov_b32_e32 v1, v105
	v_lshlrev_b64 v[0:1], 4, v[0:1]
	v_add_co_u32_e32 v0, vcc, v11, v0
	v_addc_co_u32_e32 v1, vcc, v12, v1, vcc
	s_waitcnt lgkmcnt(0)
	global_store_dwordx4 v[0:1], v[4:7], off
	ds_read_b128 v[0:3], v10 offset:5984
	v_add_u32_e32 v4, 0x176, v104
	v_mov_b32_e32 v5, v105
	v_lshlrev_b64 v[4:5], 4, v[4:5]
	v_add_co_u32_e32 v8, vcc, v11, v4
	v_addc_co_u32_e32 v9, vcc, v12, v5, vcc
	ds_read_b128 v[4:7], v10 offset:8976
	s_waitcnt lgkmcnt(1)
	global_store_dwordx4 v[8:9], v[0:3], off
	s_nop 0
	v_add_u32_e32 v0, 0x231, v104
	v_mov_b32_e32 v1, v105
	v_lshlrev_b64 v[0:1], 4, v[0:1]
	v_add_co_u32_e32 v0, vcc, v11, v0
	v_addc_co_u32_e32 v1, vcc, v12, v1, vcc
	s_waitcnt lgkmcnt(0)
	global_store_dwordx4 v[0:1], v[4:7], off
	ds_read_b128 v[0:3], v10 offset:11968
	v_add_u32_e32 v4, 0x2ec, v104
	v_mov_b32_e32 v5, v105
	;; [unrolled: 17-line block ×3, first 2 shown]
	v_lshlrev_b64 v[4:5], 4, v[4:5]
	v_add_u32_e32 v104, 0x51d, v104
	v_add_co_u32_e32 v8, vcc, v11, v4
	v_addc_co_u32_e32 v9, vcc, v12, v5, vcc
	ds_read_b128 v[4:7], v10 offset:20944
	s_waitcnt lgkmcnt(1)
	global_store_dwordx4 v[8:9], v[0:3], off
	s_nop 0
	v_lshlrev_b64 v[0:1], 4, v[104:105]
	v_add_co_u32_e32 v0, vcc, v11, v0
	v_addc_co_u32_e32 v1, vcc, v12, v1, vcc
	s_waitcnt lgkmcnt(0)
	global_store_dwordx4 v[0:1], v[4:7], off
.LBB0_25:
	s_endpgm
	.section	.rodata,"a",@progbits
	.p2align	6, 0x0
	.amdhsa_kernel fft_rtc_back_len1496_factors_17_8_11_wgs_187_tpt_187_halfLds_dp_ip_CI_unitstride_sbrr_C2R_dirReg
		.amdhsa_group_segment_fixed_size 0
		.amdhsa_private_segment_fixed_size 0
		.amdhsa_kernarg_size 88
		.amdhsa_user_sgpr_count 6
		.amdhsa_user_sgpr_private_segment_buffer 1
		.amdhsa_user_sgpr_dispatch_ptr 0
		.amdhsa_user_sgpr_queue_ptr 0
		.amdhsa_user_sgpr_kernarg_segment_ptr 1
		.amdhsa_user_sgpr_dispatch_id 0
		.amdhsa_user_sgpr_flat_scratch_init 0
		.amdhsa_user_sgpr_private_segment_size 0
		.amdhsa_uses_dynamic_stack 0
		.amdhsa_system_sgpr_private_segment_wavefront_offset 0
		.amdhsa_system_sgpr_workgroup_id_x 1
		.amdhsa_system_sgpr_workgroup_id_y 0
		.amdhsa_system_sgpr_workgroup_id_z 0
		.amdhsa_system_sgpr_workgroup_info 0
		.amdhsa_system_vgpr_workitem_id 0
		.amdhsa_next_free_vgpr 233
		.amdhsa_next_free_sgpr 58
		.amdhsa_reserve_vcc 1
		.amdhsa_reserve_flat_scratch 0
		.amdhsa_float_round_mode_32 0
		.amdhsa_float_round_mode_16_64 0
		.amdhsa_float_denorm_mode_32 3
		.amdhsa_float_denorm_mode_16_64 3
		.amdhsa_dx10_clamp 1
		.amdhsa_ieee_mode 1
		.amdhsa_fp16_overflow 0
		.amdhsa_exception_fp_ieee_invalid_op 0
		.amdhsa_exception_fp_denorm_src 0
		.amdhsa_exception_fp_ieee_div_zero 0
		.amdhsa_exception_fp_ieee_overflow 0
		.amdhsa_exception_fp_ieee_underflow 0
		.amdhsa_exception_fp_ieee_inexact 0
		.amdhsa_exception_int_div_zero 0
	.end_amdhsa_kernel
	.text
.Lfunc_end0:
	.size	fft_rtc_back_len1496_factors_17_8_11_wgs_187_tpt_187_halfLds_dp_ip_CI_unitstride_sbrr_C2R_dirReg, .Lfunc_end0-fft_rtc_back_len1496_factors_17_8_11_wgs_187_tpt_187_halfLds_dp_ip_CI_unitstride_sbrr_C2R_dirReg
                                        ; -- End function
	.section	.AMDGPU.csdata,"",@progbits
; Kernel info:
; codeLenInByte = 13288
; NumSgprs: 62
; NumVgprs: 233
; ScratchSize: 0
; MemoryBound: 0
; FloatMode: 240
; IeeeMode: 1
; LDSByteSize: 0 bytes/workgroup (compile time only)
; SGPRBlocks: 7
; VGPRBlocks: 58
; NumSGPRsForWavesPerEU: 62
; NumVGPRsForWavesPerEU: 233
; Occupancy: 1
; WaveLimiterHint : 1
; COMPUTE_PGM_RSRC2:SCRATCH_EN: 0
; COMPUTE_PGM_RSRC2:USER_SGPR: 6
; COMPUTE_PGM_RSRC2:TRAP_HANDLER: 0
; COMPUTE_PGM_RSRC2:TGID_X_EN: 1
; COMPUTE_PGM_RSRC2:TGID_Y_EN: 0
; COMPUTE_PGM_RSRC2:TGID_Z_EN: 0
; COMPUTE_PGM_RSRC2:TIDIG_COMP_CNT: 0
	.type	__hip_cuid_a3e80e1feacd5a8f,@object ; @__hip_cuid_a3e80e1feacd5a8f
	.section	.bss,"aw",@nobits
	.globl	__hip_cuid_a3e80e1feacd5a8f
__hip_cuid_a3e80e1feacd5a8f:
	.byte	0                               ; 0x0
	.size	__hip_cuid_a3e80e1feacd5a8f, 1

	.ident	"AMD clang version 19.0.0git (https://github.com/RadeonOpenCompute/llvm-project roc-6.4.0 25133 c7fe45cf4b819c5991fe208aaa96edf142730f1d)"
	.section	".note.GNU-stack","",@progbits
	.addrsig
	.addrsig_sym __hip_cuid_a3e80e1feacd5a8f
	.amdgpu_metadata
---
amdhsa.kernels:
  - .args:
      - .actual_access:  read_only
        .address_space:  global
        .offset:         0
        .size:           8
        .value_kind:     global_buffer
      - .offset:         8
        .size:           8
        .value_kind:     by_value
      - .actual_access:  read_only
        .address_space:  global
        .offset:         16
        .size:           8
        .value_kind:     global_buffer
      - .actual_access:  read_only
        .address_space:  global
        .offset:         24
        .size:           8
        .value_kind:     global_buffer
      - .offset:         32
        .size:           8
        .value_kind:     by_value
      - .actual_access:  read_only
        .address_space:  global
        .offset:         40
        .size:           8
        .value_kind:     global_buffer
      - .actual_access:  read_only
        .address_space:  global
        .offset:         48
        .size:           8
        .value_kind:     global_buffer
      - .offset:         56
        .size:           4
        .value_kind:     by_value
      - .actual_access:  read_only
        .address_space:  global
        .offset:         64
        .size:           8
        .value_kind:     global_buffer
      - .actual_access:  read_only
        .address_space:  global
        .offset:         72
        .size:           8
        .value_kind:     global_buffer
      - .address_space:  global
        .offset:         80
        .size:           8
        .value_kind:     global_buffer
    .group_segment_fixed_size: 0
    .kernarg_segment_align: 8
    .kernarg_segment_size: 88
    .language:       OpenCL C
    .language_version:
      - 2
      - 0
    .max_flat_workgroup_size: 187
    .name:           fft_rtc_back_len1496_factors_17_8_11_wgs_187_tpt_187_halfLds_dp_ip_CI_unitstride_sbrr_C2R_dirReg
    .private_segment_fixed_size: 0
    .sgpr_count:     62
    .sgpr_spill_count: 0
    .symbol:         fft_rtc_back_len1496_factors_17_8_11_wgs_187_tpt_187_halfLds_dp_ip_CI_unitstride_sbrr_C2R_dirReg.kd
    .uniform_work_group_size: 1
    .uses_dynamic_stack: false
    .vgpr_count:     233
    .vgpr_spill_count: 0
    .wavefront_size: 64
amdhsa.target:   amdgcn-amd-amdhsa--gfx906
amdhsa.version:
  - 1
  - 2
...

	.end_amdgpu_metadata
